;; amdgpu-corpus repo=ROCm/rocFFT kind=compiled arch=gfx1201 opt=O3
	.text
	.amdgcn_target "amdgcn-amd-amdhsa--gfx1201"
	.amdhsa_code_object_version 6
	.protected	bluestein_single_fwd_len676_dim1_sp_op_CI_CI ; -- Begin function bluestein_single_fwd_len676_dim1_sp_op_CI_CI
	.globl	bluestein_single_fwd_len676_dim1_sp_op_CI_CI
	.p2align	8
	.type	bluestein_single_fwd_len676_dim1_sp_op_CI_CI,@function
bluestein_single_fwd_len676_dim1_sp_op_CI_CI: ; @bluestein_single_fwd_len676_dim1_sp_op_CI_CI
; %bb.0:
	s_load_b128 s[16:19], s[0:1], 0x28
	v_mul_u32_u24_e32 v1, 0x4ed, v0
	s_mov_b32 s2, exec_lo
	v_mov_b32_e32 v73, 0
	s_delay_alu instid0(VALU_DEP_2) | instskip(NEXT) | instid1(VALU_DEP_1)
	v_lshrrev_b32_e32 v1, 16, v1
	v_add_nc_u32_e32 v72, ttmp9, v1
	s_wait_kmcnt 0x0
	s_delay_alu instid0(VALU_DEP_1)
	v_cmpx_gt_u64_e64 s[16:17], v[72:73]
	s_cbranch_execz .LBB0_10
; %bb.1:
	s_clause 0x1
	s_load_b128 s[4:7], s[0:1], 0x18
	s_load_b128 s[8:11], s[0:1], 0x0
	v_mul_lo_u16 v1, v1, 52
	s_delay_alu instid0(VALU_DEP_1) | instskip(NEXT) | instid1(VALU_DEP_1)
	v_sub_nc_u16 v28, v0, v1
	v_and_b32_e32 v109, 0xffff, v28
	s_delay_alu instid0(VALU_DEP_1)
	v_lshlrev_b32_e32 v110, 3, v109
	s_wait_kmcnt 0x0
	s_load_b128 s[12:15], s[4:5], 0x0
	s_clause 0xa
	global_load_b64 v[73:74], v110, s[8:9]
	global_load_b64 v[79:80], v110, s[8:9] offset:416
	global_load_b64 v[75:76], v110, s[8:9] offset:832
	;; [unrolled: 1-line block ×10, first 2 shown]
	v_add_nc_u32_e32 v30, 0x800, v110
	s_wait_kmcnt 0x0
	v_mad_co_u64_u32 v[0:1], null, s14, v72, 0
	v_mad_co_u64_u32 v[2:3], null, s12, v109, 0
	s_mul_u64 s[2:3], s[12:13], 0x1a0
	s_delay_alu instid0(VALU_DEP_1) | instskip(NEXT) | instid1(VALU_DEP_1)
	v_mad_co_u64_u32 v[4:5], null, s15, v72, v[1:2]
	v_mad_co_u64_u32 v[5:6], null, s13, v109, v[3:4]
	v_mov_b32_e32 v1, v4
	s_delay_alu instid0(VALU_DEP_1) | instskip(NEXT) | instid1(VALU_DEP_3)
	v_lshlrev_b64_e32 v[0:1], 3, v[0:1]
	v_mov_b32_e32 v3, v5
	s_delay_alu instid0(VALU_DEP_2) | instskip(NEXT) | instid1(VALU_DEP_2)
	v_add_co_u32 v0, vcc_lo, s18, v0
	v_lshlrev_b64_e32 v[2:3], 3, v[2:3]
	s_delay_alu instid0(VALU_DEP_4) | instskip(NEXT) | instid1(VALU_DEP_2)
	v_add_co_ci_u32_e32 v1, vcc_lo, s19, v1, vcc_lo
	v_add_co_u32 v0, vcc_lo, v0, v2
	s_wait_alu 0xfffd
	s_delay_alu instid0(VALU_DEP_2) | instskip(NEXT) | instid1(VALU_DEP_2)
	v_add_co_ci_u32_e32 v1, vcc_lo, v1, v3, vcc_lo
	v_add_co_u32 v2, vcc_lo, v0, s2
	s_wait_alu 0xfffd
	s_delay_alu instid0(VALU_DEP_2) | instskip(SKIP_4) | instid1(VALU_DEP_2)
	v_add_co_ci_u32_e32 v3, vcc_lo, s3, v1, vcc_lo
	global_load_b64 v[0:1], v[0:1], off
	v_add_co_u32 v4, vcc_lo, v2, s2
	s_wait_alu 0xfffd
	v_add_co_ci_u32_e32 v5, vcc_lo, s3, v3, vcc_lo
	v_add_co_u32 v6, vcc_lo, v4, s2
	s_wait_alu 0xfffd
	s_delay_alu instid0(VALU_DEP_2) | instskip(NEXT) | instid1(VALU_DEP_2)
	v_add_co_ci_u32_e32 v7, vcc_lo, s3, v5, vcc_lo
	v_add_co_u32 v8, vcc_lo, v6, s2
	s_wait_alu 0xfffd
	s_delay_alu instid0(VALU_DEP_2)
	v_add_co_ci_u32_e32 v9, vcc_lo, s3, v7, vcc_lo
	s_clause 0x2
	global_load_b64 v[2:3], v[2:3], off
	global_load_b64 v[4:5], v[4:5], off
	;; [unrolled: 1-line block ×3, first 2 shown]
	v_add_co_u32 v10, vcc_lo, v8, s2
	s_wait_alu 0xfffd
	v_add_co_ci_u32_e32 v11, vcc_lo, s3, v9, vcc_lo
	global_load_b64 v[8:9], v[8:9], off
	v_add_co_u32 v12, vcc_lo, v10, s2
	s_wait_alu 0xfffd
	v_add_co_ci_u32_e32 v13, vcc_lo, s3, v11, vcc_lo
	global_load_b64 v[10:11], v[10:11], off
	v_add_co_u32 v14, vcc_lo, v12, s2
	s_wait_alu 0xfffd
	v_add_co_ci_u32_e32 v15, vcc_lo, s3, v13, vcc_lo
	global_load_b64 v[12:13], v[12:13], off
	v_add_co_u32 v16, vcc_lo, v14, s2
	s_wait_alu 0xfffd
	v_add_co_ci_u32_e32 v17, vcc_lo, s3, v15, vcc_lo
	global_load_b64 v[14:15], v[14:15], off
	v_add_co_u32 v18, vcc_lo, v16, s2
	s_wait_alu 0xfffd
	v_add_co_ci_u32_e32 v19, vcc_lo, s3, v17, vcc_lo
	global_load_b64 v[16:17], v[16:17], off
	v_add_co_u32 v20, vcc_lo, v18, s2
	s_wait_alu 0xfffd
	v_add_co_ci_u32_e32 v21, vcc_lo, s3, v19, vcc_lo
	global_load_b64 v[18:19], v[18:19], off
	v_add_co_u32 v22, vcc_lo, v20, s2
	s_wait_alu 0xfffd
	v_add_co_ci_u32_e32 v23, vcc_lo, s3, v21, vcc_lo
	global_load_b64 v[20:21], v[20:21], off
	v_add_co_u32 v24, vcc_lo, v22, s2
	s_wait_alu 0xfffd
	v_add_co_ci_u32_e32 v25, vcc_lo, s3, v23, vcc_lo
	global_load_b64 v[95:96], v110, s[8:9] offset:4576
	global_load_b64 v[22:23], v[22:23], off
	global_load_b64 v[97:98], v110, s[8:9] offset:4992
	global_load_b64 v[24:25], v[24:25], off
	s_load_b128 s[4:7], s[6:7], 0x0
	s_load_b64 s[2:3], s[0:1], 0x38
	v_cmp_gt_u16_e32 vcc_lo, 13, v28
	s_wait_loadcnt 0xe
	v_mul_f32_e32 v26, v1, v74
	v_mul_f32_e32 v27, v0, v74
	s_delay_alu instid0(VALU_DEP_2)
	v_dual_fmac_f32 v26, v0, v73 :: v_dual_add_nc_u32 v111, 0x400, v110
	s_wait_loadcnt 0xd
	v_mul_f32_e32 v31, v3, v80
	s_wait_loadcnt 0xc
	v_mul_f32_e32 v0, v5, v76
	;; [unrolled: 2-line block ×3, first 2 shown]
	v_fma_f32 v27, v1, v73, -v27
	v_mul_f32_e32 v1, v2, v80
	v_dual_fmac_f32 v31, v2, v79 :: v_dual_mul_f32 v2, v7, v82
	v_mul_f32_e32 v33, v4, v76
	v_dual_fmac_f32 v0, v4, v75 :: v_dual_add_nc_u32 v29, 0x1000, v110
	s_delay_alu instid0(VALU_DEP_4) | instskip(NEXT) | instid1(VALU_DEP_4)
	v_fma_f32 v32, v3, v79, -v1
	v_fmac_f32_e32 v2, v6, v81
	s_delay_alu instid0(VALU_DEP_4)
	v_fma_f32 v1, v5, v75, -v33
	v_fma_f32 v3, v7, v81, -v34
	s_wait_loadcnt 0xa
	v_mul_f32_e32 v4, v9, v78
	s_wait_loadcnt 0x9
	v_dual_mul_f32 v5, v8, v78 :: v_dual_mul_f32 v6, v11, v84
	ds_store_2addr_b64 v110, v[26:27], v[31:32] offset1:52
	ds_store_2addr_b64 v110, v[0:1], v[2:3] offset0:104 offset1:156
	v_dual_fmac_f32 v4, v8, v77 :: v_dual_mul_f32 v1, v10, v84
	v_fma_f32 v5, v9, v77, -v5
	s_wait_loadcnt 0x8
	v_dual_fmac_f32 v6, v10, v83 :: v_dual_mul_f32 v3, v12, v86
	s_wait_loadcnt 0x7
	v_dual_mul_f32 v0, v13, v86 :: v_dual_mul_f32 v9, v14, v88
	v_mul_f32_e32 v2, v15, v88
	v_fma_f32 v7, v11, v83, -v1
	v_fma_f32 v1, v13, v85, -v3
	s_wait_loadcnt 0x6
	v_mul_f32_e32 v8, v17, v90
	v_fma_f32 v3, v15, v87, -v9
	v_mul_f32_e32 v9, v16, v90
	s_wait_loadcnt 0x5
	v_dual_fmac_f32 v0, v12, v85 :: v_dual_mul_f32 v11, v18, v92
	v_mul_f32_e32 v10, v19, v92
	v_fmac_f32_e32 v2, v14, v87
	v_fma_f32 v9, v17, v89, -v9
	s_wait_loadcnt 0x4
	v_mul_f32_e32 v13, v20, v94
	v_mul_f32_e32 v12, v21, v94
	v_fma_f32 v11, v19, v91, -v11
	s_wait_loadcnt 0x2
	v_mul_f32_e32 v14, v23, v96
	v_dual_mul_f32 v15, v22, v96 :: v_dual_fmac_f32 v8, v16, v89
	s_wait_loadcnt 0x0
	v_mul_f32_e32 v16, v25, v98
	v_dual_mul_f32 v17, v24, v98 :: v_dual_fmac_f32 v10, v18, v91
	v_fmac_f32_e32 v12, v20, v93
	v_fma_f32 v13, v21, v93, -v13
	v_fmac_f32_e32 v14, v22, v95
	v_fma_f32 v15, v23, v95, -v15
	;; [unrolled: 2-line block ×3, first 2 shown]
	ds_store_2addr_b64 v111, v[4:5], v[6:7] offset0:80 offset1:132
	ds_store_2addr_b64 v30, v[0:1], v[2:3] offset0:56 offset1:108
	;; [unrolled: 1-line block ×4, first 2 shown]
	ds_store_b64 v110, v[16:17] offset:4992
	global_wb scope:SCOPE_SE
	s_wait_dscnt 0x0
	s_wait_kmcnt 0x0
	s_barrier_signal -1
	s_barrier_wait -1
	global_inv scope:SCOPE_SE
	ds_load_2addr_b64 v[12:15], v110 offset1:52
	ds_load_b64 v[24:25], v110 offset:4992
	ds_load_2addr_b64 v[20:23], v110 offset0:104 offset1:156
	ds_load_2addr_b64 v[0:3], v29 offset0:8 offset1:60
	;; [unrolled: 1-line block ×5, first 2 shown]
	global_wb scope:SCOPE_SE
	s_wait_dscnt 0x0
	s_barrier_signal -1
	s_barrier_wait -1
	global_inv scope:SCOPE_SE
	v_dual_add_f32 v40, v13, v15 :: v_dual_sub_f32 v41, v14, v24
	v_dual_sub_f32 v42, v15, v25 :: v_dual_add_f32 v39, v12, v14
	v_dual_add_f32 v32, v24, v14 :: v_dual_sub_f32 v51, v18, v4
	v_add_f32_e32 v31, v25, v15
	v_add_f32_e32 v33, v3, v21
	v_dual_sub_f32 v43, v20, v2 :: v_dual_sub_f32 v44, v21, v3
	v_add_f32_e32 v15, v10, v8
	v_sub_f32_e32 v45, v22, v0
	v_dual_sub_f32 v47, v16, v6 :: v_dual_add_f32 v38, v6, v16
	v_add_f32_e32 v21, v40, v21
	v_dual_add_f32 v49, v4, v18 :: v_dual_sub_f32 v48, v17, v7
	v_mul_f32_e32 v53, 0xbf52af12, v42
	s_delay_alu instid0(VALU_DEP_3)
	v_dual_mul_f32 v40, 0xbeedf032, v41 :: v_dual_add_f32 v21, v21, v23
	v_dual_add_f32 v34, v2, v20 :: v_dual_sub_f32 v27, v9, v11
	v_dual_add_f32 v36, v0, v22 :: v_dual_add_f32 v35, v1, v23
	v_sub_f32_e32 v46, v23, v1
	v_dual_add_f32 v50, v5, v19 :: v_dual_mul_f32 v55, 0xbf7e222b, v42
	v_dual_sub_f32 v52, v19, v5 :: v_dual_mul_f32 v57, 0xbf6f5d39, v42
	v_dual_add_f32 v14, v11, v9 :: v_dual_mul_f32 v59, 0xbf29c268, v42
	v_dual_sub_f32 v26, v8, v10 :: v_dual_mul_f32 v61, 0xbf52af12, v44
	v_dual_add_f32 v20, v39, v20 :: v_dual_mul_f32 v39, 0xbeedf032, v42
	s_delay_alu instid0(VALU_DEP_4)
	v_dual_mul_f32 v54, 0xbf52af12, v41 :: v_dual_mul_f32 v123, 0xbf52af12, v52
	v_dual_mul_f32 v56, 0xbf7e222b, v41 :: v_dual_mul_f32 v71, 0xbf7e222b, v46
	;; [unrolled: 1-line block ×5, first 2 shown]
	v_mul_f32_e32 v41, 0xbe750f2a, v41
	v_dual_mul_f32 v62, 0xbf52af12, v43 :: v_dual_mul_f32 v107, 0xbf52af12, v45
	v_dual_mul_f32 v66, 0xbe750f2a, v43 :: v_dual_mul_f32 v99, 0xbe750f2a, v46
	;; [unrolled: 1-line block ×5, first 2 shown]
	v_fma_f32 v137, 0x3f116cb1, v32, -v53
	v_mul_f32_e32 v64, 0xbf6f5d39, v43
	v_mul_f32_e32 v43, 0x3eedf032, v43
	v_fmamk_f32 v23, v31, 0x3f62ad3f, v40
	v_dual_add_f32 v37, v7, v17 :: v_dual_mul_f32 v100, 0x3f6f5d39, v46
	v_mul_f32_e32 v105, 0x3f6f5d39, v45
	v_dual_mul_f32 v103, 0xbf7e222b, v45 :: v_dual_mul_f32 v114, 0xbf7e222b, v48
	v_dual_mul_f32 v104, 0xbe750f2a, v45 :: v_dual_mul_f32 v131, 0xbe750f2a, v27
	;; [unrolled: 1-line block ×3, first 2 shown]
	v_mul_f32_e32 v45, 0xbf29c268, v45
	v_mul_f32_e32 v108, 0xbf6f5d39, v48
	v_dual_mul_f32 v112, 0x3f29c268, v48 :: v_dual_mul_f32 v117, 0x3f29c268, v47
	v_dual_mul_f32 v115, 0x3e750f2a, v48 :: v_dual_mul_f32 v120, 0x3e750f2a, v47
	v_mul_f32_e32 v48, 0x3f52af12, v48
	v_dual_mul_f32 v118, 0x3eedf032, v47 :: v_dual_mul_f32 v125, 0x3eedf032, v52
	v_dual_mul_f32 v119, 0xbf7e222b, v47 :: v_dual_add_f32 v20, v20, v22
	v_dual_mul_f32 v122, 0x3f7e222b, v52 :: v_dual_mul_f32 v127, 0x3f7e222b, v51
	v_dual_mul_f32 v124, 0x3e750f2a, v52 :: v_dual_mul_f32 v129, 0x3e750f2a, v51
	;; [unrolled: 1-line block ×3, first 2 shown]
	v_fma_f32 v22, 0x3f62ad3f, v32, -v39
	v_fmac_f32_e32 v39, 0x3f62ad3f, v32
	v_fma_f32 v40, 0x3f62ad3f, v31, -v40
	v_dual_fmamk_f32 v138, v31, 0x3f116cb1, v54 :: v_dual_fmac_f32 v53, 0x3f116cb1, v32
	v_mul_f32_e32 v116, 0xbf6f5d39, v47
	v_mul_f32_e32 v47, 0x3f52af12, v47
	v_fma_f32 v54, 0x3f116cb1, v31, -v54
	v_fma_f32 v139, 0x3df6dbef, v32, -v55
	v_dual_add_f32 v53, v12, v53 :: v_dual_fmamk_f32 v140, v31, 0x3df6dbef, v56
	v_fmac_f32_e32 v55, 0x3df6dbef, v32
	v_fma_f32 v56, 0x3df6dbef, v31, -v56
	v_fma_f32 v141, 0xbeb58ec6, v32, -v57
	v_mul_f32_e32 v126, 0xbf29c268, v51
	v_dual_fmamk_f32 v142, v31, 0xbeb58ec6, v58 :: v_dual_fmac_f32 v57, 0xbeb58ec6, v32
	v_fma_f32 v58, 0xbeb58ec6, v31, -v58
	v_fma_f32 v143, 0xbf3f9e67, v32, -v59
	v_dual_fmamk_f32 v144, v31, 0xbf3f9e67, v60 :: v_dual_fmac_f32 v59, 0xbf3f9e67, v32
	v_fma_f32 v60, 0xbf3f9e67, v31, -v60
	v_fma_f32 v145, 0xbf788fa5, v32, -v42
	v_fmac_f32_e32 v42, 0xbf788fa5, v32
	v_dual_fmamk_f32 v32, v31, 0xbf788fa5, v41 :: v_dual_add_f32 v55, v12, v55
	v_fma_f32 v31, 0xbf788fa5, v31, -v41
	v_fma_f32 v41, 0x3f116cb1, v34, -v61
	v_dual_fmamk_f32 v146, v33, 0x3f116cb1, v62 :: v_dual_fmac_f32 v61, 0x3f116cb1, v34
	v_fma_f32 v147, 0xbeb58ec6, v34, -v63
	v_fmac_f32_e32 v63, 0xbeb58ec6, v34
	v_fma_f32 v149, 0xbf788fa5, v34, -v65
	v_fmac_f32_e32 v65, 0xbf788fa5, v34
	v_fma_f32 v151, 0xbf3f9e67, v34, -v67
	v_dual_fmamk_f32 v152, v33, 0xbf3f9e67, v68 :: v_dual_fmac_f32 v67, 0xbf3f9e67, v34
	v_fma_f32 v153, 0x3df6dbef, v34, -v69
	v_dual_fmamk_f32 v154, v33, 0x3df6dbef, v70 :: v_dual_fmac_f32 v69, 0x3df6dbef, v34
	v_fma_f32 v155, 0x3f62ad3f, v34, -v44
	v_fmac_f32_e32 v44, 0x3f62ad3f, v34
	v_dual_mul_f32 v52, 0xbf6f5d39, v52 :: v_dual_add_f32 v39, v12, v39
	v_fmamk_f32 v34, v33, 0x3f62ad3f, v43
	v_dual_mul_f32 v102, 0xbf52af12, v46 :: v_dual_add_f32 v23, v13, v23
	v_mul_f32_e32 v46, 0xbf29c268, v46
	v_dual_fmamk_f32 v164, v35, 0x3f116cb1, v107 :: v_dual_add_f32 v17, v21, v17
	v_dual_add_f32 v137, v12, v137 :: v_dual_fmamk_f32 v148, v33, 0xbeb58ec6, v64
	v_dual_mul_f32 v128, 0xbf52af12, v51 :: v_dual_add_f32 v57, v12, v57
	v_dual_mul_f32 v130, 0x3eedf032, v51 :: v_dual_add_f32 v145, v12, v145
	v_mul_f32_e32 v51, 0xbf6f5d39, v51
	v_dual_mul_f32 v132, 0xbe750f2a, v26 :: v_dual_add_f32 v139, v12, v139
	v_fma_f32 v62, 0x3f116cb1, v33, -v62
	v_fma_f32 v64, 0xbeb58ec6, v33, -v64
	v_fmamk_f32 v150, v33, 0xbf788fa5, v66
	v_fma_f32 v66, 0xbf788fa5, v33, -v66
	v_fma_f32 v68, 0xbf3f9e67, v33, -v68
	;; [unrolled: 1-line block ×5, first 2 shown]
	v_fmac_f32_e32 v71, 0x3df6dbef, v36
	v_fma_f32 v156, 0xbf788fa5, v36, -v99
	v_fmac_f32_e32 v99, 0xbf788fa5, v36
	v_fma_f32 v157, 0xbeb58ec6, v36, -v100
	v_dual_fmac_f32 v100, 0xbeb58ec6, v36 :: v_dual_fmamk_f32 v185, v50, 0xbeb58ec6, v51
	v_fma_f32 v158, 0x3f62ad3f, v36, -v101
	v_dual_fmac_f32 v101, 0x3f62ad3f, v36 :: v_dual_fmamk_f32 v172, v37, 0x3f62ad3f, v118
	;; [unrolled: 2-line block ×4, first 2 shown]
	v_dual_fmamk_f32 v36, v35, 0x3df6dbef, v103 :: v_dual_add_f32 v143, v12, v143
	v_fma_f32 v103, 0x3df6dbef, v35, -v103
	v_dual_fmamk_f32 v161, v35, 0xbf788fa5, v104 :: v_dual_add_f32 v22, v12, v22
	v_fma_f32 v104, 0xbf788fa5, v35, -v104
	;; [unrolled: 2-line block ×4, first 2 shown]
	v_fma_f32 v107, 0x3f116cb1, v35, -v107
	v_fma_f32 v35, 0xbf3f9e67, v35, -v45
	;; [unrolled: 1-line block ×3, first 2 shown]
	v_fmac_f32_e32 v108, 0xbeb58ec6, v38
	v_fma_f32 v166, 0xbf3f9e67, v38, -v112
	v_dual_fmac_f32 v112, 0xbf3f9e67, v38 :: v_dual_fmamk_f32 v171, v37, 0xbf3f9e67, v117
	v_fma_f32 v167, 0x3f62ad3f, v38, -v113
	v_dual_fmac_f32 v113, 0x3f62ad3f, v38 :: v_dual_fmamk_f32 v184, v50, 0x3f62ad3f, v130
	v_fma_f32 v168, 0x3df6dbef, v38, -v114
	v_fmac_f32_e32 v114, 0x3df6dbef, v38
	v_fma_f32 v169, 0xbf788fa5, v38, -v115
	v_dual_fmac_f32 v115, 0xbf788fa5, v38 :: v_dual_fmamk_f32 v174, v37, 0xbf788fa5, v120
	v_fma_f32 v170, 0x3f116cb1, v38, -v48
	v_fmac_f32_e32 v48, 0x3f116cb1, v38
	v_fmamk_f32 v38, v37, 0xbeb58ec6, v116
	v_fma_f32 v116, 0xbeb58ec6, v37, -v116
	v_fma_f32 v117, 0xbf3f9e67, v37, -v117
	;; [unrolled: 1-line block ×3, first 2 shown]
	v_fmamk_f32 v173, v37, 0x3df6dbef, v119
	v_fma_f32 v119, 0x3df6dbef, v37, -v119
	v_fma_f32 v120, 0xbf788fa5, v37, -v120
	v_fma_f32 v37, 0x3f116cb1, v37, -v47
	v_fma_f32 v47, 0xbf3f9e67, v49, -v121
	v_dual_fmac_f32 v121, 0xbf3f9e67, v49 :: v_dual_add_f32 v138, v13, v138
	v_fma_f32 v176, 0x3df6dbef, v49, -v122
	v_fmac_f32_e32 v122, 0x3df6dbef, v49
	v_fma_f32 v177, 0x3f116cb1, v49, -v123
	v_fmac_f32_e32 v123, 0x3f116cb1, v49
	v_fma_f32 v178, 0xbf788fa5, v49, -v124
	v_dual_fmac_f32 v124, 0xbf788fa5, v49 :: v_dual_fmamk_f32 v183, v50, 0xbf788fa5, v129
	v_fma_f32 v179, 0x3f62ad3f, v49, -v125
	v_dual_fmac_f32 v125, 0x3f62ad3f, v49 :: v_dual_fmamk_f32 v188, v14, 0x3f62ad3f, v134
	v_fma_f32 v180, 0xbeb58ec6, v49, -v52
	v_dual_fmac_f32 v52, 0xbeb58ec6, v49 :: v_dual_add_f32 v17, v17, v19
	v_dual_fmamk_f32 v181, v50, 0x3df6dbef, v127 :: v_dual_add_f32 v140, v13, v140
	v_fma_f32 v187, 0x3f62ad3f, v15, -v133
	v_dual_fmac_f32 v133, 0x3f62ad3f, v15 :: v_dual_add_f32 v56, v13, v56
	v_dual_add_f32 v54, v13, v54 :: v_dual_add_f32 v141, v12, v141
	v_dual_fmamk_f32 v49, v50, 0xbf3f9e67, v126 :: v_dual_add_f32 v142, v13, v142
	v_add_f32_e32 v58, v13, v58
	v_dual_add_f32 v16, v20, v16 :: v_dual_add_f32 v59, v69, v59
	v_add_f32_e32 v19, v146, v23
	v_dual_add_f32 v23, v147, v137 :: v_dual_add_f32 v20, v13, v32
	v_dual_fmamk_f32 v182, v50, 0x3f116cb1, v128 :: v_dual_add_f32 v21, v61, v39
	v_add_f32_e32 v144, v13, v144
	v_dual_add_f32 v60, v13, v60 :: v_dual_add_f32 v39, v64, v54
	v_dual_add_f32 v12, v12, v42 :: v_dual_add_f32 v13, v13, v31
	v_add_f32_e32 v31, v148, v138
	s_delay_alu instid0(VALU_DEP_4)
	v_dual_add_f32 v16, v16, v18 :: v_dual_add_f32 v61, v154, v144
	v_add_f32_e32 v18, v41, v22
	v_dual_add_f32 v32, v63, v53 :: v_dual_add_f32 v41, v150, v140
	v_add_f32_e32 v22, v62, v40
	v_dual_add_f32 v42, v65, v55 :: v_dual_add_f32 v53, v66, v56
	v_dual_add_f32 v54, v151, v141 :: v_dual_add_f32 v55, v152, v142
	;; [unrolled: 1-line block ×3, first 2 shown]
	v_add_f32_e32 v40, v149, v139
	v_dual_add_f32 v20, v34, v20 :: v_dual_add_f32 v9, v17, v9
	v_add_f32_e32 v17, v36, v19
	v_add_f32_e32 v58, v153, v143
	v_dual_add_f32 v60, v70, v60 :: v_dual_add_f32 v13, v33, v13
	v_add_f32_e32 v8, v16, v8
	v_dual_add_f32 v16, v43, v18 :: v_dual_add_f32 v9, v9, v11
	v_dual_add_f32 v19, v103, v22 :: v_dual_add_f32 v22, v161, v31
	s_delay_alu instid0(VALU_DEP_4)
	v_add_f32_e32 v13, v35, v13
	v_add_f32_e32 v31, v104, v39
	v_add_f32_e32 v33, v162, v41
	v_dual_add_f32 v36, v105, v53 :: v_dual_add_f32 v39, v158, v54
	v_dual_add_f32 v62, v155, v145 :: v_dual_add_f32 v41, v101, v56
	;; [unrolled: 1-line block ×3, first 2 shown]
	v_add_f32_e32 v23, v99, v32
	v_dual_add_f32 v32, v157, v40 :: v_dual_add_f32 v11, v38, v17
	v_add_f32_e32 v34, v100, v42
	v_fma_f32 v126, 0xbf3f9e67, v50, -v126
	v_fma_f32 v127, 0x3df6dbef, v50, -v127
	;; [unrolled: 1-line block ×3, first 2 shown]
	v_dual_add_f32 v12, v44, v12 :: v_dual_add_f32 v43, v159, v58
	v_add_f32_e32 v40, v163, v55
	v_add_f32_e32 v42, v106, v57
	v_dual_add_f32 v53, v102, v59 :: v_dual_add_f32 v54, v107, v60
	v_add_f32_e32 v55, v160, v62
	v_add_f32_e32 v17, v116, v19
	v_dual_add_f32 v44, v164, v61 :: v_dual_add_f32 v19, v171, v22
	v_dual_add_f32 v22, v117, v31 :: v_dual_add_f32 v31, v172, v33
	;; [unrolled: 1-line block ×3, first 2 shown]
	v_add_f32_e32 v10, v45, v16
	v_dual_add_f32 v16, v108, v18 :: v_dual_add_f32 v13, v37, v13
	v_dual_add_f32 v18, v166, v21 :: v_dual_add_f32 v21, v112, v23
	v_add_f32_e32 v23, v167, v32
	v_dual_add_f32 v33, v118, v36 :: v_dual_add_f32 v32, v113, v34
	v_dual_add_f32 v34, v168, v39 :: v_dual_add_f32 v5, v9, v5
	v_fma_f32 v129, 0xbf788fa5, v50, -v129
	v_fma_f32 v130, 0x3f62ad3f, v50, -v130
	;; [unrolled: 1-line block ×3, first 2 shown]
	v_dual_add_f32 v12, v46, v12 :: v_dual_add_f32 v39, v169, v43
	v_add_f32_e32 v36, v114, v41
	v_dual_add_f32 v38, v119, v42 :: v_dual_add_f32 v43, v170, v55
	v_add_f32_e32 v9, v49, v11
	v_add_f32_e32 v11, v126, v17
	v_dual_add_f32 v40, v174, v44 :: v_dual_add_f32 v17, v181, v19
	v_dual_add_f32 v19, v127, v22 :: v_dual_add_f32 v22, v182, v31
	v_add_f32_e32 v31, v128, v33
	v_add_f32_e32 v42, v120, v54
	;; [unrolled: 1-line block ×3, first 2 shown]
	v_dual_add_f32 v8, v47, v10 :: v_dual_add_f32 v37, v184, v40
	v_add_f32_e32 v10, v121, v16
	v_add_f32_e32 v16, v176, v18
	v_dual_add_f32 v18, v122, v21 :: v_dual_add_f32 v5, v5, v7
	v_dual_mul_f32 v135, 0xbf29c268, v27 :: v_dual_mul_f32 v136, 0xbf29c268, v26
	v_dual_add_f32 v20, v165, v20 :: v_dual_add_f32 v41, v115, v53
	s_delay_alu instid0(VALU_DEP_3)
	v_add_f32_e32 v7, v5, v1
	v_fma_f32 v51, 0xbf788fa5, v15, -v131
	v_dual_fmamk_f32 v186, v14, 0xbf788fa5, v132 :: v_dual_fmac_f32 v131, 0xbf788fa5, v15
	v_fma_f32 v132, 0xbf788fa5, v14, -v132
	v_fma_f32 v134, 0x3f62ad3f, v14, -v134
	;; [unrolled: 1-line block ×3, first 2 shown]
	v_dual_add_f32 v12, v48, v12 :: v_dual_add_f32 v33, v183, v35
	v_dual_add_f32 v21, v177, v23 :: v_dual_add_f32 v20, v175, v20
	v_add_f32_e32 v35, v129, v38
	v_dual_add_f32 v23, v123, v32 :: v_dual_add_f32 v32, v178, v34
	v_add_f32_e32 v1, v132, v11
	;; [unrolled: 2-line block ×4, first 2 shown]
	v_add_f32_e32 v6, v4, v6
	v_add_f32_e32 v40, v180, v43
	v_dual_add_f32 v42, v52, v12 :: v_dual_fmamk_f32 v11, v14, 0xbf3f9e67, v136
	v_dual_add_f32 v43, v50, v13 :: v_dual_add_f32 v4, v51, v8
	v_fmac_f32_e32 v135, 0xbf3f9e67, v15
	v_add_f32_e32 v3, v188, v17
	v_add_f32_e32 v9, v7, v25
	v_add_f32_e32 v7, v134, v19
	v_dual_add_f32 v6, v6, v0 :: v_dual_add_f32 v11, v11, v22
	v_fma_f32 v13, 0xbf3f9e67, v14, -v136
	v_add_f32_e32 v0, v131, v10
	v_dual_add_f32 v10, v189, v21 :: v_dual_mul_f32 v17, 0x3f52af12, v26
	v_dual_add_f32 v41, v185, v20 :: v_dual_add_f32 v12, v135, v23
	v_dual_mul_f32 v22, 0xbf6f5d39, v27 :: v_dual_mul_f32 v23, 0xbf6f5d39, v26
	s_delay_alu instid0(VALU_DEP_3)
	v_fmamk_f32 v19, v14, 0x3f116cb1, v17
	v_add_f32_e32 v8, v6, v2
	v_add_f32_e32 v2, v187, v16
	v_fma_f32 v20, 0x3f116cb1, v14, -v17
	v_add_f32_e32 v6, v133, v18
	v_fma_f32 v21, 0xbeb58ec6, v15, -v22
	v_dual_add_f32 v17, v19, v33 :: v_dual_add_f32 v8, v8, v24
	v_fmamk_f32 v24, v14, 0xbeb58ec6, v23
	v_mul_f32_e32 v18, 0x3f52af12, v27
	v_dual_add_f32 v19, v20, v35 :: v_dual_mul_f32 v26, 0x3f7e222b, v26
	s_delay_alu instid0(VALU_DEP_3) | instskip(NEXT) | instid1(VALU_DEP_3)
	v_dual_add_f32 v20, v21, v36 :: v_dual_add_f32 v21, v24, v37
	v_fma_f32 v16, 0x3f116cb1, v15, -v18
	v_fmac_f32_e32 v18, 0x3f116cb1, v15
	v_and_b32_e32 v25, 0xff, v28
	v_mul_f32_e32 v27, 0x3f7e222b, v27
	v_add_f32_e32 v13, v13, v31
	v_fma_f32 v23, 0xbeb58ec6, v14, -v23
	v_add_f32_e32 v18, v18, v34
	v_mul_lo_u16 v24, 0x4f, v25
	v_fma_f32 v25, 0x3df6dbef, v15, -v27
	s_delay_alu instid0(VALU_DEP_4) | instskip(SKIP_1) | instid1(VALU_DEP_4)
	v_dual_add_f32 v16, v16, v32 :: v_dual_add_f32 v23, v23, v39
	v_mul_lo_u16 v32, v28, 13
	v_lshrrev_b16 v31, 10, v24
	s_delay_alu instid0(VALU_DEP_4) | instskip(SKIP_2) | instid1(VALU_DEP_3)
	v_dual_add_f32 v24, v25, v40 :: v_dual_fmamk_f32 v25, v14, 0x3df6dbef, v26
	v_fmac_f32_e32 v27, 0x3df6dbef, v15
	v_fma_f32 v26, 0x3df6dbef, v14, -v26
	v_dual_add_f32 v25, v25, v41 :: v_dual_and_b32 v32, 0xffff, v32
	v_fmac_f32_e32 v22, 0xbeb58ec6, v15
	v_mul_lo_u16 v15, v31, 13
	v_add_f32_e32 v14, v27, v42
	s_delay_alu instid0(VALU_DEP_4)
	v_lshlrev_b32_e32 v112, 3, v32
	ds_store_2addr_b64 v112, v[8:9], v[4:5] offset1:1
	ds_store_2addr_b64 v112, v[2:3], v[10:11] offset0:2 offset1:3
	v_add_f32_e32 v22, v22, v38
	v_sub_nc_u16 v27, v28, v15
	v_add_f32_e32 v15, v26, v43
	ds_store_2addr_b64 v112, v[16:17], v[20:21] offset0:4 offset1:5
	ds_store_2addr_b64 v112, v[24:25], v[14:15] offset0:6 offset1:7
	;; [unrolled: 1-line block ×4, first 2 shown]
	ds_store_b64 v112, v[0:1] offset:96
	v_and_b32_e32 v32, 0xff, v27
	global_wb scope:SCOPE_SE
	s_wait_dscnt 0x0
	s_barrier_signal -1
	s_barrier_wait -1
	global_inv scope:SCOPE_SE
	v_mul_u32_u24_e32 v2, 12, v32
	s_delay_alu instid0(VALU_DEP_1)
	v_lshlrev_b32_e32 v4, 3, v2
	s_clause 0x5
	global_load_b128 v[20:23], v4, s[10:11]
	global_load_b128 v[16:19], v4, s[10:11] offset:16
	global_load_b128 v[8:11], v4, s[10:11] offset:32
	;; [unrolled: 1-line block ×5, first 2 shown]
	ds_load_2addr_b64 v[24:27], v110 offset1:52
	ds_load_2addr_b64 v[35:38], v110 offset0:104 offset1:156
	ds_load_2addr_b64 v[39:42], v111 offset0:80 offset1:132
	;; [unrolled: 1-line block ×5, first 2 shown]
	ds_load_b64 v[55:56], v110 offset:4992
	global_wb scope:SCOPE_SE
	s_wait_loadcnt_dscnt 0x0
	s_barrier_signal -1
	s_barrier_wait -1
	global_inv scope:SCOPE_SE
	v_mul_f32_e32 v58, v26, v21
	v_mul_f32_e32 v60, v35, v23
	v_mul_f32_e32 v62, v37, v17
	v_mul_f32_e32 v64, v39, v19
	v_mul_f32_e32 v57, v27, v21
	v_mul_f32_e32 v103, v53, v5
	v_mul_f32_e32 v105, v55, v7
	v_mul_f32_e32 v59, v36, v23
	v_mul_f32_e32 v61, v38, v17
	v_mul_f32_e32 v65, v42, v9
	v_dual_mul_f32 v33, v43, v11 :: v_dual_mul_f32 v66, v41, v9
	v_dual_mul_f32 v70, v47, v3 :: v_dual_fmac_f32 v105, v56, v6
	v_mul_f32_e32 v71, v50, v13
	v_dual_mul_f32 v99, v49, v13 :: v_dual_mul_f32 v100, v52, v15
	v_fmac_f32_e32 v103, v54, v4
	v_dual_mul_f32 v101, v51, v15 :: v_dual_fmac_f32 v60, v36, v22
	v_dual_fmac_f32 v58, v27, v20 :: v_dual_mul_f32 v63, v40, v19
	v_dual_mul_f32 v67, v44, v11 :: v_dual_mul_f32 v68, v46, v1
	s_delay_alu instid0(VALU_DEP_3)
	v_fmac_f32_e32 v101, v52, v14
	v_fma_f32 v26, v26, v20, -v57
	v_mul_f32_e32 v102, v54, v5
	v_mul_f32_e32 v104, v56, v7
	v_fma_f32 v27, v35, v22, -v59
	v_fma_f32 v35, v37, v16, -v61
	;; [unrolled: 1-line block ×3, first 2 shown]
	v_dual_fmac_f32 v33, v44, v10 :: v_dual_fmac_f32 v66, v42, v8
	v_fma_f32 v41, v49, v12, -v71
	v_fma_f32 v42, v51, v14, -v100
	v_sub_f32_e32 v51, v60, v103
	v_add_f32_e32 v49, v58, v105
	v_fmac_f32_e32 v62, v38, v16
	v_dual_mul_f32 v34, v45, v1 :: v_dual_fmac_f32 v99, v50, v12
	v_mul_f32_e32 v69, v48, v3
	v_fma_f32 v36, v39, v18, -v63
	v_fma_f32 v38, v43, v10, -v67
	v_fma_f32 v39, v45, v0, -v68
	v_fmac_f32_e32 v70, v48, v2
	v_fma_f32 v44, v55, v6, -v104
	v_add_f32_e32 v45, v24, v26
	v_fma_f32 v43, v53, v4, -v102
	v_add_f32_e32 v53, v60, v103
	v_dual_fmac_f32 v64, v40, v18 :: v_dual_add_f32 v57, v62, v101
	v_sub_f32_e32 v48, v58, v105
	v_fmac_f32_e32 v34, v46, v0
	v_fma_f32 v40, v47, v2, -v69
	s_delay_alu instid0(VALU_DEP_4)
	v_dual_sub_f32 v59, v64, v99 :: v_dual_add_f32 v46, v25, v58
	v_sub_f32_e32 v61, v36, v41
	v_add_f32_e32 v47, v26, v44
	v_dual_sub_f32 v26, v26, v44 :: v_dual_mul_f32 v113, 0xbf6f5d39, v51
	v_add_f32_e32 v63, v64, v99
	v_dual_mul_f32 v65, 0xbeedf032, v48 :: v_dual_add_f32 v50, v27, v43
	s_delay_alu instid0(VALU_DEP_3)
	v_dual_mul_f32 v67, 0xbeedf032, v26 :: v_dual_sub_f32 v52, v27, v43
	v_dual_mul_f32 v69, 0xbf52af12, v26 :: v_dual_sub_f32 v54, v62, v101
	;; [unrolled: 1-line block ×3, first 2 shown]
	v_dual_mul_f32 v115, 0x3f29c268, v51 :: v_dual_add_f32 v58, v36, v41
	v_mul_f32_e32 v107, 0xbf29c268, v26
	v_dual_mul_f32 v68, 0xbf52af12, v48 :: v_dual_add_f32 v27, v45, v27
	v_dual_mul_f32 v100, 0xbf7e222b, v26 :: v_dual_add_f32 v45, v46, v60
	v_dual_mul_f32 v102, 0xbf6f5d39, v48 :: v_dual_mul_f32 v131, 0xbf6f5d39, v61
	s_delay_alu instid0(VALU_DEP_3)
	v_dual_mul_f32 v104, 0xbf6f5d39, v26 :: v_dual_add_f32 v27, v27, v35
	v_mul_f32_e32 v106, 0xbf29c268, v48
	v_dual_mul_f32 v48, 0xbe750f2a, v48 :: v_dual_mul_f32 v121, 0xbe750f2a, v54
	v_dual_mul_f32 v26, 0xbe750f2a, v26 :: v_dual_mul_f32 v117, 0xbe750f2a, v52
	v_dual_mul_f32 v116, 0x3f7e222b, v51 :: v_dual_mul_f32 v119, 0x3f7e222b, v52
	v_dual_mul_f32 v134, 0x3eedf032, v59 :: v_dual_mul_f32 v135, 0x3eedf032, v61
	v_fma_f32 v140, 0x3f62ad3f, v47, -v65
	v_dual_add_f32 v55, v35, v42 :: v_dual_mul_f32 v108, 0xbf52af12, v51
	v_mul_f32_e32 v129, 0xbf52af12, v56
	v_dual_mul_f32 v118, 0x3f29c268, v52 :: v_dual_mul_f32 v133, 0x3f29c268, v61
	v_dual_mul_f32 v120, 0xbf7e222b, v54 :: v_dual_mul_f32 v125, 0xbf7e222b, v56
	;; [unrolled: 1-line block ×4, first 2 shown]
	v_fmamk_f32 v141, v49, 0x3f62ad3f, v67
	v_fmac_f32_e32 v65, 0x3f62ad3f, v47
	v_mul_f32_e32 v46, 0xbf52af12, v52
	v_fma_f32 v67, 0x3f62ad3f, v49, -v67
	v_mul_f32_e32 v60, 0xbf6f5d39, v52
	v_mul_f32_e32 v52, 0x3eedf032, v52
	v_fma_f32 v142, 0x3f116cb1, v47, -v68
	v_dual_fmamk_f32 v143, v49, 0x3f116cb1, v69 :: v_dual_fmac_f32 v68, 0x3f116cb1, v47
	v_mul_f32_e32 v124, 0xbf52af12, v54
	v_fma_f32 v69, 0x3f116cb1, v49, -v69
	v_mul_f32_e32 v54, 0xbf29c268, v54
	v_fma_f32 v144, 0x3df6dbef, v47, -v71
	v_dual_fmamk_f32 v145, v49, 0x3df6dbef, v100 :: v_dual_add_f32 v140, v24, v140
	v_mul_f32_e32 v126, 0xbe750f2a, v56
	v_fmac_f32_e32 v71, 0x3df6dbef, v47
	v_fma_f32 v100, 0x3df6dbef, v49, -v100
	v_fma_f32 v146, 0xbeb58ec6, v47, -v102
	v_dual_fmamk_f32 v147, v49, 0xbeb58ec6, v104 :: v_dual_add_f32 v142, v24, v142
	v_fmac_f32_e32 v102, 0xbeb58ec6, v47
	v_fma_f32 v104, 0xbeb58ec6, v49, -v104
	v_fma_f32 v150, 0xbf788fa5, v47, -v48
	v_dual_fmac_f32 v48, 0xbf788fa5, v47 :: v_dual_fmamk_f32 v157, v53, 0xbf788fa5, v117
	v_fma_f32 v154, 0x3df6dbef, v50, -v116
	v_fmac_f32_e32 v116, 0x3df6dbef, v50
	v_dual_mul_f32 v56, 0xbf29c268, v56 :: v_dual_add_f32 v71, v24, v71
	v_add_f32_e32 v35, v45, v62
	v_fma_f32 v148, 0xbf3f9e67, v47, -v106
	v_dual_fmamk_f32 v149, v49, 0xbf3f9e67, v107 :: v_dual_fmac_f32 v106, 0xbf3f9e67, v47
	v_mul_f32_e32 v130, 0xbf6f5d39, v59
	v_fma_f32 v107, 0xbf3f9e67, v49, -v107
	v_dual_fmamk_f32 v47, v49, 0xbf788fa5, v26 :: v_dual_add_f32 v68, v24, v68
	v_fma_f32 v26, 0xbf788fa5, v49, -v26
	v_fma_f32 v172, 0x3f62ad3f, v58, -v134
	v_fmac_f32_e32 v134, 0x3f62ad3f, v58
	v_dual_mul_f32 v114, 0xbe750f2a, v51 :: v_dual_add_f32 v141, v25, v141
	v_mul_f32_e32 v51, 0x3eedf032, v51
	v_mul_f32_e32 v132, 0x3f29c268, v59
	v_dual_mul_f32 v136, 0xbf7e222b, v59 :: v_dual_mul_f32 v137, 0xbf7e222b, v61
	v_dual_mul_f32 v138, 0x3e750f2a, v59 :: v_dual_mul_f32 v139, 0x3e750f2a, v61
	v_fma_f32 v49, 0x3f116cb1, v50, -v108
	v_dual_fmac_f32 v108, 0x3f116cb1, v50 :: v_dual_fmamk_f32 v167, v57, 0x3f116cb1, v129
	v_fma_f32 v151, 0xbeb58ec6, v50, -v113
	v_fmac_f32_e32 v113, 0xbeb58ec6, v50
	v_fma_f32 v152, 0xbf788fa5, v50, -v114
	v_fmac_f32_e32 v114, 0xbf788fa5, v50
	v_fma_f32 v153, 0xbf3f9e67, v50, -v115
	v_dual_fmac_f32 v115, 0xbf3f9e67, v50 :: v_dual_fmamk_f32 v158, v53, 0xbf3f9e67, v118
	v_fma_f32 v155, 0x3f62ad3f, v50, -v51
	v_dual_fmac_f32 v51, 0x3f62ad3f, v50 :: v_dual_fmamk_f32 v166, v57, 0x3f62ad3f, v128
	v_fma_f32 v117, 0xbf788fa5, v53, -v117
	v_fma_f32 v118, 0xbf3f9e67, v53, -v118
	v_fmamk_f32 v159, v53, 0x3df6dbef, v119
	v_fma_f32 v119, 0x3df6dbef, v53, -v119
	v_fmamk_f32 v160, v53, 0x3f62ad3f, v52
	v_fma_f32 v52, 0x3f62ad3f, v53, -v52
	v_fma_f32 v161, 0xbf788fa5, v55, -v121
	v_fmac_f32_e32 v121, 0xbf788fa5, v55
	v_fma_f32 v162, 0xbeb58ec6, v55, -v122
	v_fmac_f32_e32 v122, 0xbeb58ec6, v55
	v_fma_f32 v163, 0x3f62ad3f, v55, -v123
	v_dual_fmac_f32 v123, 0x3f62ad3f, v55 :: v_dual_add_f32 v144, v24, v144
	v_fmamk_f32 v45, v57, 0x3df6dbef, v125
	v_fma_f32 v128, 0x3f62ad3f, v57, -v128
	v_fma_f32 v129, 0x3f116cb1, v57, -v129
	v_dual_fmamk_f32 v173, v63, 0x3f62ad3f, v135 :: v_dual_add_f32 v100, v25, v100
	v_dual_add_f32 v65, v24, v65 :: v_dual_fmamk_f32 v50, v53, 0x3f116cb1, v46
	v_fma_f32 v46, 0x3f116cb1, v53, -v46
	v_add_f32_e32 v67, v25, v67
	v_dual_fmamk_f32 v156, v53, 0xbeb58ec6, v60 :: v_dual_fmamk_f32 v169, v63, 0xbeb58ec6, v131
	v_fma_f32 v60, 0xbeb58ec6, v53, -v60
	v_fma_f32 v53, 0x3df6dbef, v55, -v120
	v_fmac_f32_e32 v120, 0x3df6dbef, v55
	v_add_f32_e32 v143, v25, v143
	v_fma_f32 v164, 0x3f116cb1, v55, -v124
	v_dual_fmac_f32 v124, 0x3f116cb1, v55 :: v_dual_add_f32 v69, v25, v69
	v_fma_f32 v165, 0xbf3f9e67, v55, -v54
	v_dual_fmac_f32 v54, 0xbf3f9e67, v55 :: v_dual_fmamk_f32 v171, v63, 0xbf3f9e67, v133
	v_fma_f32 v55, 0x3df6dbef, v57, -v125
	v_add_f32_e32 v145, v25, v145
	v_dual_fmamk_f32 v62, v57, 0xbf788fa5, v126 :: v_dual_fmamk_f32 v177, v63, 0xbf788fa5, v139
	v_fma_f32 v125, 0xbf788fa5, v57, -v126
	v_fmamk_f32 v126, v57, 0xbeb58ec6, v127
	v_fma_f32 v127, 0xbeb58ec6, v57, -v127
	v_dual_add_f32 v147, v25, v147 :: v_dual_add_f32 v102, v24, v102
	v_add_f32_e32 v107, v25, v107
	v_add_f32_e32 v104, v25, v104
	v_dual_add_f32 v148, v24, v148 :: v_dual_add_f32 v47, v25, v47
	v_add_f32_e32 v149, v25, v149
	v_fmamk_f32 v168, v57, 0xbf3f9e67, v56
	v_fma_f32 v56, 0xbf3f9e67, v57, -v56
	v_fma_f32 v57, 0xbeb58ec6, v58, -v130
	v_fmac_f32_e32 v130, 0xbeb58ec6, v58
	v_dual_add_f32 v25, v25, v26 :: v_dual_add_f32 v26, v27, v36
	v_add_f32_e32 v47, v160, v47
	v_dual_add_f32 v27, v35, v64 :: v_dual_add_f32 v106, v24, v106
	v_add_f32_e32 v36, v50, v141
	v_fma_f32 v170, 0xbf3f9e67, v58, -v132
	v_fmac_f32_e32 v132, 0xbf3f9e67, v58
	s_delay_alu instid0(VALU_DEP_4)
	v_add_f32_e32 v27, v27, v66
	v_dual_fmamk_f32 v175, v63, 0x3df6dbef, v137 :: v_dual_add_f32 v146, v24, v146
	v_dual_add_f32 v35, v49, v140 :: v_dual_add_f32 v150, v24, v150
	v_add_f32_e32 v24, v24, v48
	v_dual_add_f32 v46, v46, v67 :: v_dual_add_f32 v25, v52, v25
	v_add_f32_e32 v67, v157, v145
	v_add_f32_e32 v64, v113, v68
	;; [unrolled: 1-line block ×3, first 2 shown]
	v_dual_add_f32 v60, v60, v69 :: v_dual_add_f32 v69, v117, v100
	v_dual_add_f32 v106, v116, v106 :: v_dual_add_f32 v27, v27, v33
	;; [unrolled: 1-line block ×6, first 2 shown]
	v_add_f32_e32 v48, v108, v65
	v_add_f32_e32 v65, v152, v144
	v_dual_add_f32 v56, v56, v25 :: v_dual_add_f32 v25, v27, v34
	v_add_f32_e32 v49, v151, v142
	v_add_f32_e32 v113, v159, v149
	s_delay_alu instid0(VALU_DEP_4) | instskip(NEXT) | instid1(VALU_DEP_4)
	v_dual_add_f32 v52, v162, v65 :: v_dual_add_f32 v107, v119, v107
	v_dual_add_f32 v25, v25, v70 :: v_dual_add_f32 v104, v118, v104
	v_add_f32_e32 v60, v127, v69
	v_fma_f32 v174, 0x3df6dbef, v58, -v136
	s_delay_alu instid0(VALU_DEP_3)
	v_dual_fmac_f32 v136, 0x3df6dbef, v58 :: v_dual_add_f32 v25, v25, v99
	v_fma_f32 v137, 0x3df6dbef, v63, -v137
	v_add_f32_e32 v108, v154, v148
	v_add_f32_e32 v36, v45, v36
	v_dual_add_f32 v45, v120, v48 :: v_dual_add_f32 v48, v161, v49
	v_add_f32_e32 v49, v62, v50
	v_add_f32_e32 v53, v126, v67
	v_dual_add_f32 v62, v163, v71 :: v_dual_add_f32 v25, v25, v101
	v_add_f32_e32 v69, v167, v113
	v_dual_add_f32 v102, v115, v102 :: v_dual_add_f32 v67, v128, v104
	v_add_f32_e32 v26, v26, v38
	v_add_f32_e32 v71, v124, v106
	v_dual_add_f32 v68, v164, v108 :: v_dual_add_f32 v25, v25, v103
	v_dual_add_f32 v35, v57, v35 :: v_dual_add_f32 v54, v54, v24
	s_delay_alu instid0(VALU_DEP_4) | instskip(SKIP_3) | instid1(VALU_DEP_4)
	v_add_f32_e32 v24, v26, v39
	v_mul_f32_e32 v57, 0x3f52af12, v59
	v_dual_add_f32 v59, v177, v69 :: v_dual_add_f32 v114, v155, v150
	v_add_f32_e32 v47, v168, v47
	v_add_f32_e32 v24, v24, v40
	v_fma_f32 v133, 0xbf3f9e67, v63, -v133
	v_fma_f32 v135, 0x3f62ad3f, v63, -v135
	v_dual_add_f32 v100, v158, v147 :: v_dual_add_f32 v65, v123, v102
	s_delay_alu instid0(VALU_DEP_4)
	v_add_f32_e32 v24, v24, v41
	v_fma_f32 v131, 0xbeb58ec6, v63, -v131
	v_fma_f32 v176, 0xbf788fa5, v58, -v138
	v_add_f32_e32 v50, v121, v64
	v_dual_add_f32 v64, v166, v100 :: v_dual_add_f32 v41, v133, v51
	v_add_f32_e32 v24, v24, v42
	v_dual_add_f32 v100, v129, v107 :: v_dual_add_f32 v51, v135, v60
	v_mul_f32_e32 v60, 0x3f52af12, v61
	s_delay_alu instid0(VALU_DEP_3)
	v_dual_add_f32 v27, v130, v45 :: v_dual_add_f32 v24, v24, v43
	v_add_f32_e32 v26, v169, v36
	v_dual_add_f32 v45, v170, v48 :: v_dual_add_f32 v48, v132, v50
	v_add_f32_e32 v50, v173, v53
	v_add_f32_e32 v53, v136, v65
	;; [unrolled: 1-line block ×3, first 2 shown]
	v_fma_f32 v61, 0xbf788fa5, v63, -v139
	v_add_f32_e32 v36, v131, v46
	v_dual_add_f32 v46, v171, v49 :: v_dual_sub_f32 v65, v66, v70
	v_add_f32_e32 v44, v176, v68
	v_add_f32_e32 v68, v37, v40
	v_sub_f32_e32 v37, v37, v40
	v_fma_f32 v40, 0x3f116cb1, v63, -v60
	v_dual_add_f32 v102, v165, v114 :: v_dual_add_f32 v43, v175, v64
	v_dual_add_f32 v49, v172, v52 :: v_dual_add_f32 v42, v134, v55
	s_delay_alu instid0(VALU_DEP_3) | instskip(SKIP_3) | instid1(VALU_DEP_3)
	v_add_f32_e32 v40, v40, v56
	v_dual_mul_f32 v56, 0x3f7e222b, v65 :: v_dual_add_f32 v55, v137, v67
	v_fmamk_f32 v67, v63, 0x3f116cb1, v60
	v_dual_mul_f32 v69, 0xbf29c268, v65 :: v_dual_add_f32 v60, v66, v70
	v_fma_f32 v66, 0x3df6dbef, v68, -v56
	v_fmac_f32_e32 v138, 0xbf788fa5, v58
	v_mul_f32_e32 v63, 0xbf29c268, v37
	v_add_f32_e32 v25, v25, v105
	v_add_f32_e32 v47, v67, v47
	;; [unrolled: 1-line block ×4, first 2 shown]
	v_fma_f32 v62, 0x3f116cb1, v58, -v57
	v_fmac_f32_e32 v57, 0x3f116cb1, v58
	v_fma_f32 v58, 0xbf3f9e67, v68, -v69
	v_fmac_f32_e32 v69, 0xbf3f9e67, v68
	v_add_f32_e32 v61, v61, v100
	v_fmac_f32_e32 v56, 0x3df6dbef, v68
	v_add_f32_e32 v62, v62, v102
	v_add_f32_e32 v35, v58, v35
	v_fma_f32 v58, 0xbf3f9e67, v60, -v63
	v_add_f32_e32 v67, v69, v27
	v_dual_add_f32 v64, v138, v71 :: v_dual_mul_f32 v27, 0xbf52af12, v65
	v_dual_add_f32 v54, v57, v54 :: v_dual_fmamk_f32 v57, v60, 0xbf3f9e67, v63
	s_delay_alu instid0(VALU_DEP_4) | instskip(SKIP_2) | instid1(VALU_DEP_3)
	v_dual_mul_f32 v63, 0x3f7e222b, v37 :: v_dual_add_f32 v36, v58, v36
	v_add_f32_e32 v48, v56, v48
	v_add_co_u32 v107, s0, s8, v110
	v_fma_f32 v58, 0x3df6dbef, v60, -v63
	v_dual_add_f32 v57, v57, v26 :: v_dual_fmamk_f32 v26, v60, 0x3df6dbef, v63
	v_fma_f32 v63, 0x3f116cb1, v68, -v27
	s_delay_alu instid0(VALU_DEP_3)
	v_dual_fmac_f32 v27, 0x3f116cb1, v68 :: v_dual_add_f32 v56, v58, v41
	v_mul_f32_e32 v41, 0x3e750f2a, v65
	s_wait_alu 0xf1ff
	v_add_co_ci_u32_e64 v108, null, s9, 0, s0
	v_add_f32_e32 v49, v63, v49
	v_add_f32_e32 v42, v27, v42
	v_fma_f32 v63, 0xbf788fa5, v68, -v41
	v_fmac_f32_e32 v41, 0xbf788fa5, v68
	s_delay_alu instid0(VALU_DEP_2) | instskip(NEXT) | instid1(VALU_DEP_2)
	v_dual_add_f32 v52, v63, v52 :: v_dual_mul_f32 v63, 0x3eedf032, v37
	v_dual_add_f32 v53, v41, v53 :: v_dual_add_f32 v46, v26, v46
	v_mul_f32_e32 v26, 0xbf52af12, v37
	v_mul_f32_e32 v41, 0xbf6f5d39, v65
	s_delay_alu instid0(VALU_DEP_2) | instskip(NEXT) | instid1(VALU_DEP_1)
	v_fmamk_f32 v58, v60, 0x3f116cb1, v26
	v_add_f32_e32 v50, v58, v50
	v_mul_f32_e32 v58, 0x3e750f2a, v37
	s_delay_alu instid0(VALU_DEP_1) | instskip(NEXT) | instid1(VALU_DEP_1)
	v_fmamk_f32 v27, v60, 0xbf788fa5, v58
	v_add_f32_e32 v69, v27, v43
	v_fmamk_f32 v27, v60, 0x3f62ad3f, v63
	v_fma_f32 v43, 0xbeb58ec6, v68, -v41
	v_fmac_f32_e32 v41, 0xbeb58ec6, v68
	s_delay_alu instid0(VALU_DEP_3) | instskip(SKIP_3) | instid1(VALU_DEP_3)
	v_add_f32_e32 v59, v27, v59
	v_fma_f32 v26, 0x3f116cb1, v60, -v26
	v_mul_f32_e32 v27, 0xbf6f5d39, v37
	v_fma_f32 v37, 0x3f62ad3f, v60, -v63
	v_dual_add_f32 v51, v26, v51 :: v_dual_mul_f32 v26, 0x3eedf032, v65
	s_delay_alu instid0(VALU_DEP_2) | instskip(SKIP_4) | instid1(VALU_DEP_3)
	v_add_f32_e32 v61, v37, v61
	v_add_f32_e32 v65, v38, v39
	v_fma_f32 v58, 0xbf788fa5, v60, -v58
	v_sub_f32_e32 v39, v38, v39
	v_fma_f32 v66, 0x3f62ad3f, v68, -v26
	v_dual_fmac_f32 v26, 0x3f62ad3f, v68 :: v_dual_add_f32 v55, v58, v55
	s_delay_alu instid0(VALU_DEP_2) | instskip(NEXT) | instid1(VALU_DEP_2)
	v_add_f32_e32 v58, v66, v44
	v_dual_add_f32 v63, v26, v64 :: v_dual_sub_f32 v64, v33, v34
	v_fmamk_f32 v26, v60, 0xbeb58ec6, v27
	s_delay_alu instid0(VALU_DEP_2) | instskip(NEXT) | instid1(VALU_DEP_2)
	v_dual_add_f32 v62, v43, v62 :: v_dual_mul_f32 v37, 0xbe750f2a, v64
	v_add_f32_e32 v66, v26, v47
	v_fma_f32 v26, 0xbeb58ec6, v60, -v27
	v_dual_add_f32 v60, v33, v34 :: v_dual_mul_f32 v33, 0xbe750f2a, v39
	s_delay_alu instid0(VALU_DEP_4) | instskip(NEXT) | instid1(VALU_DEP_3)
	v_fma_f32 v27, 0xbf788fa5, v65, -v37
	v_dual_fmac_f32 v37, 0xbf788fa5, v65 :: v_dual_add_f32 v68, v26, v40
	s_delay_alu instid0(VALU_DEP_2) | instskip(SKIP_3) | instid1(VALU_DEP_4)
	v_dual_mul_f32 v43, 0xbf29c268, v64 :: v_dual_add_f32 v26, v27, v35
	v_mul_f32_e32 v35, 0x3eedf032, v64
	v_fmamk_f32 v27, v60, 0xbf788fa5, v33
	v_fma_f32 v33, 0xbf788fa5, v60, -v33
	v_fma_f32 v44, 0xbf3f9e67, v65, -v43
	v_fmac_f32_e32 v43, 0xbf3f9e67, v65
	v_fma_f32 v38, 0x3f62ad3f, v65, -v35
	v_fmac_f32_e32 v35, 0x3f62ad3f, v65
	v_mul_f32_e32 v34, 0x3eedf032, v39
	v_add_f32_e32 v54, v41, v54
	v_add_f32_e32 v41, v33, v36
	v_dual_add_f32 v33, v38, v45 :: v_dual_mul_f32 v38, 0xbf29c268, v39
	v_dual_add_f32 v40, v37, v67 :: v_dual_add_f32 v35, v35, v48
	v_fmamk_f32 v36, v60, 0x3f62ad3f, v34
	v_fma_f32 v37, 0x3f62ad3f, v60, -v34
	v_add_f32_e32 v42, v43, v42
	s_delay_alu instid0(VALU_DEP_3) | instskip(NEXT) | instid1(VALU_DEP_3)
	v_dual_add_f32 v27, v27, v57 :: v_dual_add_f32 v34, v36, v46
	v_dual_add_f32 v36, v37, v56 :: v_dual_add_f32 v37, v44, v49
	v_fmamk_f32 v45, v60, 0xbf3f9e67, v38
	v_fma_f32 v44, 0xbf3f9e67, v60, -v38
	v_mul_f32_e32 v46, 0x3f52af12, v64
	s_delay_alu instid0(VALU_DEP_3) | instskip(SKIP_1) | instid1(VALU_DEP_4)
	v_dual_mul_f32 v49, 0xbf6f5d39, v39 :: v_dual_add_f32 v38, v45, v50
	v_mul_f32_e32 v45, 0x3f52af12, v39
	v_add_f32_e32 v43, v44, v51
	s_delay_alu instid0(VALU_DEP_4) | instskip(SKIP_3) | instid1(VALU_DEP_4)
	v_fma_f32 v47, 0x3f116cb1, v65, -v46
	v_fmac_f32_e32 v46, 0x3f116cb1, v65
	v_mul_f32_e32 v39, 0x3f7e222b, v39
	v_fma_f32 v48, 0x3f116cb1, v60, -v45
	v_add_f32_e32 v44, v47, v52
	v_fmamk_f32 v52, v60, 0xbeb58ec6, v49
	v_mul_f32_e32 v50, 0xbf6f5d39, v64
	v_dual_fmamk_f32 v47, v60, 0x3f116cb1, v45 :: v_dual_add_f32 v46, v46, v53
	s_delay_alu instid0(VALU_DEP_2) | instskip(NEXT) | instid1(VALU_DEP_2)
	v_fma_f32 v51, 0xbeb58ec6, v65, -v50
	v_add_f32_e32 v45, v47, v69
	v_add_f32_e32 v47, v48, v55
	s_delay_alu instid0(VALU_DEP_3) | instskip(SKIP_1) | instid1(VALU_DEP_1)
	v_dual_mul_f32 v55, 0x3f7e222b, v64 :: v_dual_add_f32 v48, v51, v58
	v_fma_f32 v51, 0xbeb58ec6, v60, -v49
	v_add_f32_e32 v51, v51, v61
	v_add_f32_e32 v49, v52, v59
	s_delay_alu instid0(VALU_DEP_4)
	v_fma_f32 v52, 0x3df6dbef, v65, -v55
	v_and_b32_e32 v31, 0xffff, v31
	v_fmac_f32_e32 v55, 0x3df6dbef, v65
	v_fmamk_f32 v53, v60, 0x3df6dbef, v39
	v_fma_f32 v39, 0x3df6dbef, v60, -v39
	v_add_f32_e32 v52, v52, v62
	v_mul_u32_u24_e32 v31, 0xa9, v31
	v_add_f32_e32 v54, v55, v54
	s_delay_alu instid0(VALU_DEP_4) | instskip(SKIP_1) | instid1(VALU_DEP_4)
	v_dual_fmac_f32 v50, 0xbeb58ec6, v65 :: v_dual_add_f32 v55, v39, v68
	v_add_f32_e32 v53, v53, v66
	v_add_lshl_u32 v113, v31, v32, 3
	s_delay_alu instid0(VALU_DEP_3)
	v_add_f32_e32 v50, v50, v63
	ds_store_2addr_b64 v113, v[24:25], v[26:27] offset1:13
	ds_store_2addr_b64 v113, v[33:34], v[37:38] offset0:26 offset1:39
	ds_store_2addr_b64 v113, v[44:45], v[48:49] offset0:52 offset1:65
	;; [unrolled: 1-line block ×5, first 2 shown]
	ds_store_b64 v113, v[40:41] offset:1248
	global_wb scope:SCOPE_SE
	s_wait_dscnt 0x0
	s_barrier_signal -1
	s_barrier_wait -1
	global_inv scope:SCOPE_SE
	ds_load_2addr_b64 v[48:51], v110 offset1:52
	ds_load_2addr_b64 v[44:47], v110 offset0:104 offset1:169
	ds_load_2addr_b64 v[60:63], v30 offset0:82 offset1:134
	ds_load_2addr_b64 v[56:59], v30 offset0:186 offset1:251
	ds_load_2addr_b64 v[68:71], v111 offset0:93 offset1:145
	ds_load_2addr_b64 v[64:67], v29 offset0:47 offset1:99
                                        ; implicit-def: $vgpr54
	s_and_saveexec_b32 s0, vcc_lo
	s_cbranch_execz .LBB0_3
; %bb.2:
	v_add_nc_u32_e32 v24, 0xe00, v110
	ds_load_2addr_b64 v[40:43], v111 offset0:28 offset1:197
	ds_load_2addr_b64 v[52:55], v24 offset0:46 offset1:215
.LBB0_3:
	s_wait_alu 0xfffe
	s_or_b32 exec_lo, exec_lo, s0
	v_mad_co_u64_u32 v[24:25], null, v109, 24, s[10:11]
	s_clause 0x5
	global_load_b128 v[28:31], v[24:25], off offset:1248
	global_load_b64 v[105:106], v[24:25], off offset:1264
	global_load_b128 v[32:35], v[24:25], off offset:2496
	global_load_b64 v[103:104], v[24:25], off offset:2512
	;; [unrolled: 2-line block ×3, first 2 shown]
	v_add_nc_u32_e32 v24, 0x9c, v109
	s_wait_loadcnt_dscnt 0x503
	v_dual_mul_f32 v116, v61, v31 :: v_dual_add_nc_u32 v25, -13, v109
	s_delay_alu instid0(VALU_DEP_1)
	v_dual_mul_f32 v117, v60, v31 :: v_dual_cndmask_b32 v24, v25, v24
	v_mul_f32_e32 v115, v46, v29
	s_wait_loadcnt_dscnt 0x402
	v_dual_mul_f32 v114, v47, v29 :: v_dual_mul_f32 v119, v58, v106
	s_wait_loadcnt_dscnt 0x301
	v_dual_mul_f32 v118, v59, v106 :: v_dual_mul_f32 v121, v68, v33
	v_mul_i32_i24_e32 v25, 24, v24
	v_mul_hi_i32_i24_e32 v24, 24, v24
	s_wait_loadcnt_dscnt 0x200
	v_dual_mul_f32 v122, v63, v35 :: v_dual_mul_f32 v125, v64, v104
	s_wait_loadcnt 0x1
	v_dual_mul_f32 v126, v71, v37 :: v_dual_mul_f32 v129, v56, v39
	v_add_co_u32 v99, s0, s10, v25
	s_wait_alu 0xf1ff
	v_add_co_ci_u32_e64 v100, s0, s11, v24, s0
	s_clause 0x1
	global_load_b128 v[24:27], v[99:100], off offset:1248
	global_load_b64 v[99:100], v[99:100], off offset:1264
	s_wait_loadcnt 0x2
	v_dual_mul_f32 v128, v57, v39 :: v_dual_mul_f32 v131, v66, v102
	v_dual_mul_f32 v130, v67, v102 :: v_dual_fmac_f32 v121, v69, v32
	v_dual_mul_f32 v120, v69, v33 :: v_dual_mul_f32 v123, v62, v35
	v_dual_mul_f32 v124, v65, v104 :: v_dual_mul_f32 v127, v70, v37
	v_fmac_f32_e32 v119, v59, v105
	v_fmac_f32_e32 v117, v61, v30
	;; [unrolled: 1-line block ×3, first 2 shown]
	v_fma_f32 v47, v60, v30, -v116
	v_fma_f32 v60, v62, v34, -v122
	;; [unrolled: 1-line block ×4, first 2 shown]
	v_fmac_f32_e32 v129, v57, v38
	v_fma_f32 v57, v66, v101, -v130
	v_fma_f32 v46, v46, v28, -v114
	v_fma_f32 v58, v58, v105, -v118
	v_fma_f32 v59, v68, v32, -v120
	v_fma_f32 v61, v64, v103, -v124
	v_fmac_f32_e32 v125, v65, v103
	v_fmac_f32_e32 v131, v67, v101
	v_dual_sub_f32 v67, v44, v56 :: v_dual_sub_f32 v56, v62, v57
	s_delay_alu instid0(VALU_DEP_3) | instskip(SKIP_1) | instid1(VALU_DEP_2)
	v_dual_fmac_f32 v123, v63, v34 :: v_dual_sub_f32 v66, v121, v125
	v_dual_sub_f32 v63, v48, v47 :: v_dual_sub_f32 v64, v49, v117
	v_dual_sub_f32 v60, v50, v60 :: v_dual_sub_f32 v65, v51, v123
	s_delay_alu instid0(VALU_DEP_1)
	v_fma_f32 v122, v50, 2.0, -v60
	s_wait_loadcnt 0x1
	v_dual_mul_f32 v70, v42, v25 :: v_dual_fmac_f32 v127, v71, v36
	v_sub_f32_e32 v68, v45, v129
	v_dual_mul_f32 v114, v52, v27 :: v_dual_sub_f32 v61, v59, v61
	s_wait_loadcnt 0x0
	v_mul_f32_e32 v116, v55, v100
	v_fma_f32 v118, v48, 2.0, -v63
	v_sub_f32_e32 v57, v127, v131
	v_dual_sub_f32 v47, v46, v58 :: v_dual_sub_f32 v58, v115, v119
	v_dual_mul_f32 v71, v53, v27 :: v_dual_fmac_f32 v70, v43, v24
	v_sub_f32_e32 v48, v60, v66
	v_fma_f32 v123, v51, 2.0, -v65
	s_delay_alu instid0(VALU_DEP_4)
	v_fma_f32 v115, v115, 2.0, -v58
	v_sub_f32_e32 v50, v67, v57
	v_fma_f32 v120, v46, 2.0, -v47
	v_dual_sub_f32 v46, v63, v58 :: v_dual_add_f32 v51, v68, v56
	v_dual_fmac_f32 v114, v53, v26 :: v_dual_mul_f32 v117, v54, v100
	v_fma_f32 v58, v59, 2.0, -v61
	v_fma_f32 v59, v121, 2.0, -v66
	v_mul_f32_e32 v69, v43, v25
	v_fma_f32 v121, v45, 2.0, -v68
	v_fma_f32 v71, v52, v26, -v71
	s_delay_alu instid0(VALU_DEP_4)
	v_dual_sub_f32 v52, v122, v58 :: v_dual_sub_f32 v53, v123, v59
	v_fma_f32 v59, v68, 2.0, -v51
	v_dual_sub_f32 v68, v41, v114 :: v_dual_fmac_f32 v117, v55, v99
	v_fma_f32 v119, v49, 2.0, -v64
	v_fma_f32 v66, v44, 2.0, -v67
	v_fma_f32 v69, v42, v24, -v69
	v_fma_f32 v116, v54, v99, -v116
	v_fma_f32 v58, v67, 2.0, -v50
	v_dual_sub_f32 v67, v40, v71 :: v_dual_sub_f32 v114, v70, v117
	v_add_f32_e32 v49, v65, v61
	v_fma_f32 v61, v62, 2.0, -v56
	v_dual_add_f32 v47, v64, v47 :: v_dual_sub_f32 v42, v118, v120
	v_sub_f32_e32 v43, v119, v115
	v_fma_f32 v44, v63, 2.0, -v46
	s_delay_alu instid0(VALU_DEP_4) | instskip(NEXT) | instid1(VALU_DEP_4)
	v_sub_f32_e32 v56, v66, v61
	v_fma_f32 v45, v64, 2.0, -v47
	v_sub_f32_e32 v71, v69, v116
	v_fma_f32 v62, v127, 2.0, -v57
	v_fma_f32 v54, v60, 2.0, -v48
	;; [unrolled: 1-line block ×4, first 2 shown]
	ds_store_b64 v110, v[44:45] offset:1352
	ds_store_b64 v110, v[42:43] offset:2704
	ds_store_b64 v110, v[46:47] offset:4056
	v_fma_f32 v44, v40, 2.0, -v67
	v_fma_f32 v45, v41, 2.0, -v68
	;; [unrolled: 1-line block ×4, first 2 shown]
	v_dual_sub_f32 v42, v67, v114 :: v_dual_add_f32 v43, v68, v71
	v_sub_f32_e32 v57, v121, v62
	v_fma_f32 v62, v122, 2.0, -v52
	v_fma_f32 v63, v123, 2.0, -v53
	v_dual_sub_f32 v40, v44, v40 :: v_dual_sub_f32 v41, v45, v41
	v_fma_f32 v46, v67, 2.0, -v42
	v_fma_f32 v47, v68, 2.0, -v43
	;; [unrolled: 1-line block ×5, first 2 shown]
	ds_store_2addr_b64 v110, v[60:61], v[62:63] offset1:52
	ds_store_b64 v110, v[48:49] offset:4472
	ds_store_b64 v110, v[52:53] offset:3120
	;; [unrolled: 1-line block ×3, first 2 shown]
	ds_store_2addr_b64 v111, v[54:55], v[58:59] offset0:93 offset1:145
	ds_store_b64 v110, v[56:57] offset:3536
	ds_store_b64 v110, v[50:51] offset:4888
	s_and_saveexec_b32 s0, vcc_lo
	s_cbranch_execz .LBB0_5
; %bb.4:
	v_fma_f32 v45, v45, 2.0, -v41
	v_fma_f32 v44, v44, 2.0, -v40
	v_add_nc_u32_e32 v48, 0x400, v110
	v_add_nc_u32_e32 v49, 0xe00, v110
	ds_store_2addr_b64 v48, v[44:45], v[46:47] offset0:28 offset1:197
	ds_store_2addr_b64 v49, v[40:41], v[42:43] offset0:46 offset1:215
.LBB0_5:
	s_wait_alu 0xfffe
	s_or_b32 exec_lo, exec_lo, s0
	s_add_nc_u64 s[0:1], s[8:9], 0x1520
	global_wb scope:SCOPE_SE
	s_wait_dscnt 0x0
	s_barrier_signal -1
	s_barrier_wait -1
	global_inv scope:SCOPE_SE
	s_clause 0xc
	global_load_b64 v[44:45], v[107:108], off offset:5408
	global_load_b64 v[52:53], v110, s[0:1] offset:416
	global_load_b64 v[107:108], v110, s[0:1] offset:832
	;; [unrolled: 1-line block ×12, first 2 shown]
	ds_load_2addr_b64 v[48:51], v110 offset1:52
	v_add_nc_u32_e32 v68, 0x400, v110
	v_add_nc_u32_e32 v69, 0x1000, v110
	s_wait_loadcnt_dscnt 0xc00
	v_mul_f32_e32 v55, v49, v45
	v_mul_f32_e32 v54, v48, v45
	s_wait_loadcnt 0xb
	v_mul_f32_e32 v56, v51, v53
	v_mul_f32_e32 v45, v50, v53
	v_fma_f32 v53, v48, v44, -v55
	s_delay_alu instid0(VALU_DEP_2)
	v_fmac_f32_e32 v45, v51, v52
	v_fmac_f32_e32 v54, v49, v44
	v_fma_f32 v44, v50, v52, -v56
	ds_store_2addr_b64 v110, v[53:54], v[44:45] offset1:52
	ds_load_2addr_b64 v[48:51], v110 offset0:104 offset1:156
	s_wait_loadcnt_dscnt 0xa00
	v_dual_mul_f32 v71, v49, v108 :: v_dual_add_nc_u32 v70, 0x800, v110
	ds_load_2addr_b64 v[52:55], v68 offset0:80 offset1:132
	ds_load_2addr_b64 v[56:59], v70 offset0:56 offset1:108
	;; [unrolled: 1-line block ×4, first 2 shown]
	ds_load_b64 v[44:45], v110 offset:4992
	s_wait_loadcnt 0x9
	v_dual_mul_f32 v134, v48, v108 :: v_dual_mul_f32 v111, v51, v115
	v_mul_f32_e32 v108, v50, v115
	s_delay_alu instid0(VALU_DEP_2)
	v_fmac_f32_e32 v134, v49, v107
	s_wait_loadcnt_dscnt 0x804
	v_mul_f32_e32 v135, v53, v117
	s_wait_loadcnt 0x7
	v_dual_mul_f32 v115, v52, v117 :: v_dual_mul_f32 v136, v55, v119
	v_dual_mul_f32 v117, v54, v119 :: v_dual_fmac_f32 v108, v51, v114
	s_wait_loadcnt_dscnt 0x503
	v_dual_mul_f32 v137, v57, v121 :: v_dual_mul_f32 v138, v59, v123
	s_wait_loadcnt_dscnt 0x302
	v_dual_mul_f32 v119, v56, v121 :: v_dual_mul_f32 v140, v63, v127
	v_mul_f32_e32 v121, v58, v123
	s_wait_loadcnt_dscnt 0x101
	v_dual_mul_f32 v139, v61, v125 :: v_dual_mul_f32 v142, v67, v131
	v_mul_f32_e32 v123, v60, v125
	v_mul_f32_e32 v125, v62, v127
	;; [unrolled: 1-line block ×5, first 2 shown]
	s_wait_loadcnt_dscnt 0x0
	v_mul_f32_e32 v143, v45, v133
	v_mul_f32_e32 v131, v44, v133
	v_fma_f32 v133, v48, v107, -v71
	v_fma_f32 v107, v50, v114, -v111
	;; [unrolled: 1-line block ×3, first 2 shown]
	v_fmac_f32_e32 v115, v53, v116
	v_fma_f32 v116, v54, v118, -v136
	v_fmac_f32_e32 v117, v55, v118
	v_fma_f32 v118, v56, v120, -v137
	;; [unrolled: 2-line block ×8, first 2 shown]
	v_fmac_f32_e32 v131, v45, v132
	ds_store_2addr_b64 v110, v[133:134], v[107:108] offset0:104 offset1:156
	ds_store_2addr_b64 v68, v[114:115], v[116:117] offset0:80 offset1:132
	;; [unrolled: 1-line block ×5, first 2 shown]
	ds_store_b64 v110, v[130:131] offset:4992
	global_wb scope:SCOPE_SE
	s_wait_dscnt 0x0
	s_barrier_signal -1
	s_barrier_wait -1
	global_inv scope:SCOPE_SE
	ds_load_2addr_b64 v[60:63], v110 offset1:52
	ds_load_b64 v[44:45], v110 offset:4992
	ds_load_2addr_b64 v[114:117], v110 offset0:104 offset1:156
	ds_load_2addr_b64 v[52:55], v69 offset0:8 offset1:60
	;; [unrolled: 1-line block ×5, first 2 shown]
	global_wb scope:SCOPE_SE
	s_wait_dscnt 0x0
	s_barrier_signal -1
	s_barrier_wait -1
	global_inv scope:SCOPE_SE
	v_dual_add_f32 v108, v44, v62 :: v_dual_sub_f32 v125, v117, v53
	v_dual_sub_f32 v121, v115, v55 :: v_dual_add_f32 v118, v54, v114
	v_sub_f32_e32 v120, v114, v54
	v_add_f32_e32 v122, v52, v116
	s_delay_alu instid0(VALU_DEP_4) | instskip(NEXT) | instid1(VALU_DEP_4)
	v_dual_mul_f32 v154, 0xbf7e222b, v125 :: v_dual_add_f32 v71, v60, v62
	v_dual_mul_f32 v144, 0xbf52af12, v121 :: v_dual_add_f32 v107, v61, v63
	;; [unrolled: 1-line block ×3, first 2 shown]
	v_mul_f32_e32 v148, 0xbe750f2a, v121
	v_sub_f32_e32 v63, v63, v45
	v_dual_sub_f32 v129, v65, v59 :: v_dual_mul_f32 v152, 0x3f7e222b, v121
	v_dual_add_f32 v71, v71, v114 :: v_dual_sub_f32 v124, v116, v52
	s_delay_alu instid0(VALU_DEP_3) | instskip(NEXT) | instid1(VALU_DEP_3)
	v_mul_f32_e32 v114, 0xbeedf032, v63
	v_mul_f32_e32 v164, 0xbf6f5d39, v129
	v_sub_f32_e32 v62, v62, v44
	s_delay_alu instid0(VALU_DEP_4)
	v_add_f32_e32 v71, v71, v116
	v_dual_add_f32 v119, v55, v115 :: v_dual_mul_f32 v150, 0x3f29c268, v121
	v_fmamk_f32 v116, v108, 0x3f62ad3f, v114
	v_mul_f32_e32 v138, 0xbf7e222b, v63
	v_mul_f32_e32 v136, 0xbf52af12, v63
	;; [unrolled: 1-line block ×3, first 2 shown]
	v_fma_f32 v114, 0x3f62ad3f, v108, -v114
	s_delay_alu instid0(VALU_DEP_4) | instskip(NEXT) | instid1(VALU_DEP_4)
	v_dual_add_f32 v123, v53, v117 :: v_dual_fmamk_f32 v186, v108, 0x3df6dbef, v138
	v_dual_fmamk_f32 v184, v108, 0x3f116cb1, v136 :: v_dual_add_f32 v107, v107, v115
	v_mul_f32_e32 v162, 0xbf52af12, v125
	v_add_f32_e32 v126, v58, v64
	v_dual_sub_f32 v128, v64, v58 :: v_dual_add_f32 v131, v57, v67
	v_mul_f32_e32 v156, 0xbe750f2a, v125
	v_dual_sub_f32 v133, v67, v57 :: v_dual_fmamk_f32 v190, v108, 0xbf3f9e67, v142
	v_mul_f32_e32 v137, 0x3f116cb1, v111
	v_dual_mul_f32 v139, 0x3df6dbef, v111 :: v_dual_fmamk_f32 v200, v118, 0x3df6dbef, v152
	v_mul_f32_e32 v140, 0xbf6f5d39, v63
	v_dual_mul_f32 v141, 0xbeb58ec6, v111 :: v_dual_fmamk_f32 v194, v118, 0xbeb58ec6, v146
	v_dual_mul_f32 v143, 0xbf3f9e67, v111 :: v_dual_fmamk_f32 v198, v118, 0xbf3f9e67, v150
	v_dual_mul_f32 v63, 0xbe750f2a, v63 :: v_dual_add_f32 v64, v71, v64
	v_dual_mul_f32 v121, 0x3eedf032, v121 :: v_dual_add_f32 v114, v60, v114
	v_mul_f32_e32 v115, 0x3f62ad3f, v111
	s_delay_alu instid0(VALU_DEP_3)
	v_dual_mul_f32 v111, 0xbf788fa5, v111 :: v_dual_fmamk_f32 v192, v108, 0xbf788fa5, v63
	v_fma_f32 v136, 0x3f116cb1, v108, -v136
	v_fma_f32 v142, 0xbf3f9e67, v108, -v142
	v_add_f32_e32 v107, v107, v117
	v_dual_add_f32 v127, v59, v65 :: v_dual_fmamk_f32 v188, v108, 0xbeb58ec6, v140
	v_dual_add_f32 v134, v50, v48 :: v_dual_sub_f32 v135, v49, v51
	v_mul_f32_e32 v158, 0x3f6f5d39, v125
	v_dual_mul_f32 v145, 0x3f116cb1, v119 :: v_dual_fmamk_f32 v210, v122, 0x3f116cb1, v162
	v_dual_mul_f32 v149, 0xbf788fa5, v119 :: v_dual_fmamk_f32 v196, v118, 0xbf788fa5, v148
	v_mul_f32_e32 v160, 0x3eedf032, v125
	v_mul_f32_e32 v125, 0xbf29c268, v125
	v_dual_mul_f32 v166, 0x3f29c268, v129 :: v_dual_fmamk_f32 v191, v62, 0x3f29c268, v143
	v_mul_f32_e32 v170, 0xbf7e222b, v129
	v_dual_mul_f32 v172, 0x3e750f2a, v129 :: v_dual_fmamk_f32 v193, v62, 0x3e750f2a, v111
	v_dual_mul_f32 v174, 0xbf29c268, v133 :: v_dual_fmac_f32 v143, 0xbf29c268, v62
	v_dual_mul_f32 v175, 0xbf3f9e67, v131 :: v_dual_add_f32 v136, v60, v136
	v_dual_mul_f32 v176, 0x3f7e222b, v133 :: v_dual_fmamk_f32 v187, v62, 0x3f7e222b, v139
	v_mul_f32_e32 v177, 0x3df6dbef, v131
	v_mul_f32_e32 v178, 0xbf52af12, v133
	v_fma_f32 v138, 0x3df6dbef, v108, -v138
	v_fmac_f32_e32 v139, 0xbf7e222b, v62
	v_fma_f32 v140, 0xbeb58ec6, v108, -v140
	v_fma_f32 v63, 0xbf788fa5, v108, -v63
	v_fmamk_f32 v185, v62, 0x3f52af12, v137
	v_fmac_f32_e32 v137, 0xbf52af12, v62
	v_fma_f32 v146, 0xbeb58ec6, v118, -v146
	v_fmac_f32_e32 v111, 0xbe750f2a, v62
	v_fmamk_f32 v202, v118, 0x3f62ad3f, v121
	v_dual_mul_f32 v168, 0x3eedf032, v129 :: v_dual_fmamk_f32 v117, v62, 0x3eedf032, v115
	v_fmac_f32_e32 v115, 0xbeedf032, v62
	v_add_f32_e32 v71, v60, v116
	v_add_f32_e32 v116, v60, v184
	;; [unrolled: 1-line block ×3, first 2 shown]
	v_dual_add_f32 v142, v60, v142 :: v_dual_add_f32 v65, v107, v65
	v_fmamk_f32 v189, v62, 0x3f6f5d39, v141
	v_fmac_f32_e32 v141, 0xbf6f5d39, v62
	v_fmamk_f32 v62, v118, 0x3f116cb1, v144
	v_fma_f32 v144, 0x3f116cb1, v118, -v144
	v_add_f32_e32 v130, v56, v66
	v_dual_sub_f32 v132, v66, v56 :: v_dual_mul_f32 v147, 0xbeb58ec6, v119
	v_fmamk_f32 v206, v122, 0xbeb58ec6, v158
	v_dual_mul_f32 v151, 0xbf3f9e67, v119 :: v_dual_fmamk_f32 v212, v122, 0xbf3f9e67, v125
	v_mul_f32_e32 v153, 0x3df6dbef, v119
	v_dual_mul_f32 v119, 0x3f62ad3f, v119 :: v_dual_fmamk_f32 v208, v122, 0x3f62ad3f, v160
	v_dual_mul_f32 v129, 0x3f52af12, v129 :: v_dual_fmamk_f32 v108, v120, 0x3f52af12, v145
	v_dual_mul_f32 v179, 0x3f116cb1, v131 :: v_dual_add_f32 v138, v60, v138
	v_dual_mul_f32 v180, 0x3e750f2a, v133 :: v_dual_fmamk_f32 v197, v120, 0x3e750f2a, v149
	v_mul_f32_e32 v181, 0xbf788fa5, v131
	v_mul_f32_e32 v182, 0x3eedf032, v133
	v_dual_mul_f32 v183, 0x3f62ad3f, v131 :: v_dual_add_f32 v186, v60, v188
	v_dual_mul_f32 v133, 0xbf6f5d39, v133 :: v_dual_add_f32 v140, v60, v140
	;; [unrolled: 1-line block ×3, first 2 shown]
	v_fmac_f32_e32 v145, 0xbf52af12, v120
	v_add_f32_e32 v190, v60, v192
	v_add_f32_e32 v60, v60, v63
	;; [unrolled: 1-line block ×6, first 2 shown]
	v_dual_mul_f32 v161, 0x3f62ad3f, v123 :: v_dual_fmamk_f32 v216, v126, 0x3f62ad3f, v168
	v_fma_f32 v148, 0xbf788fa5, v118, -v148
	v_fma_f32 v150, 0xbf3f9e67, v118, -v150
	;; [unrolled: 1-line block ×4, first 2 shown]
	v_fmamk_f32 v201, v120, 0xbf7e222b, v153
	v_dual_fmac_f32 v153, 0x3f7e222b, v120 :: v_dual_add_f32 v64, v64, v49
	v_add_f32_e32 v63, v63, v48
	v_dual_mul_f32 v157, 0xbf788fa5, v123 :: v_dual_fmamk_f32 v204, v122, 0xbf788fa5, v156
	v_dual_mul_f32 v171, 0x3df6dbef, v127 :: v_dual_fmamk_f32 v224, v130, 0x3df6dbef, v176
	v_fmamk_f32 v195, v120, 0x3f6f5d39, v147
	v_fmac_f32_e32 v147, 0xbf6f5d39, v120
	v_dual_fmac_f32 v149, 0xbe750f2a, v120 :: v_dual_add_f32 v142, v152, v142
	v_fmamk_f32 v199, v120, 0xbf29c268, v151
	v_dual_fmac_f32 v151, 0x3f29c268, v120 :: v_dual_add_f32 v144, v202, v190
	v_fmamk_f32 v203, v120, 0xbeedf032, v119
	v_fmac_f32_e32 v119, 0x3eedf032, v120
	v_fmamk_f32 v120, v122, 0x3df6dbef, v154
	v_fma_f32 v154, 0x3df6dbef, v122, -v154
	v_fma_f32 v156, 0xbf788fa5, v122, -v156
	;; [unrolled: 1-line block ×5, first 2 shown]
	v_add_f32_e32 v66, v154, v66
	v_fma_f32 v122, 0xbf3f9e67, v122, -v125
	v_add_f32_e32 v62, v62, v71
	v_dual_add_f32 v71, v194, v116 :: v_dual_add_f32 v116, v148, v138
	v_dual_add_f32 v60, v118, v60 :: v_dual_fmamk_f32 v209, v124, 0xbeedf032, v161
	v_dual_fmac_f32 v161, 0x3eedf032, v124 :: v_dual_add_f32 v64, v64, v51
	v_add_f32_e32 v63, v63, v50
	v_dual_mul_f32 v165, 0xbeb58ec6, v127 :: v_dual_fmamk_f32 v232, v130, 0xbeb58ec6, v133
	v_mul_f32_e32 v167, 0xbf3f9e67, v127
	v_dual_mul_f32 v169, 0x3f62ad3f, v127 :: v_dual_fmamk_f32 v230, v130, 0x3f62ad3f, v182
	v_dual_mul_f32 v173, 0xbf788fa5, v127 :: v_dual_fmamk_f32 v220, v126, 0xbf788fa5, v172
	v_dual_mul_f32 v127, 0x3f116cb1, v127 :: v_dual_fmamk_f32 v226, v130, 0x3f116cb1, v178
	v_dual_fmamk_f32 v205, v124, 0x3e750f2a, v157 :: v_dual_add_f32 v116, v158, v116
	v_fma_f32 v168, 0x3f62ad3f, v126, -v168
	v_dual_fmamk_f32 v219, v128, 0x3f7e222b, v171 :: v_dual_add_f32 v56, v63, v56
	v_add_f32_e32 v107, v61, v117
	v_add_f32_e32 v57, v64, v57
	v_dual_mul_f32 v155, 0x3df6dbef, v123 :: v_dual_fmamk_f32 v218, v126, 0x3df6dbef, v170
	v_mul_f32_e32 v159, 0xbeb58ec6, v123
	v_dual_mul_f32 v163, 0x3f116cb1, v123 :: v_dual_fmamk_f32 v222, v126, 0x3f116cb1, v129
	v_dual_mul_f32 v123, 0xbf3f9e67, v123 :: v_dual_fmamk_f32 v214, v126, 0xbf3f9e67, v166
	v_fma_f32 v178, 0x3f116cb1, v130, -v178
	v_add_f32_e32 v138, v150, v140
	v_add_f32_e32 v140, v200, v188
	v_dual_add_f32 v65, v108, v107 :: v_dual_add_f32 v108, v146, v136
	v_dual_add_f32 v136, v198, v186 :: v_dual_add_f32 v117, v61, v185
	;; [unrolled: 1-line block ×3, first 2 shown]
	v_fmamk_f32 v223, v128, 0xbf52af12, v127
	v_dual_fmac_f32 v127, 0x3f52af12, v128 :: v_dual_add_f32 v56, v56, v58
	v_add_f32_e32 v57, v57, v59
	v_dual_fmamk_f32 v121, v124, 0x3f7e222b, v155 :: v_dual_add_f32 v114, v206, v114
	v_dual_fmac_f32 v155, 0xbf7e222b, v124 :: v_dual_add_f32 v62, v120, v62
	v_dual_fmac_f32 v157, 0xbe750f2a, v124 :: v_dual_add_f32 v120, v160, v138
	v_fmamk_f32 v207, v124, 0xbf6f5d39, v159
	v_dual_fmac_f32 v159, 0x3f6f5d39, v124 :: v_dual_add_f32 v138, v162, v142
	v_fma_f32 v166, 0xbf3f9e67, v126, -v166
	v_fma_f32 v172, 0xbf788fa5, v126, -v172
	v_dual_add_f32 v115, v61, v115 :: v_dual_add_f32 v108, v156, v108
	v_fmamk_f32 v211, v124, 0x3f52af12, v163
	v_fmac_f32_e32 v163, 0xbf52af12, v124
	v_dual_add_f32 v141, v61, v141 :: v_dual_add_f32 v52, v56, v52
	v_add_f32_e32 v118, v208, v136
	v_fmamk_f32 v213, v124, 0x3f29c268, v123
	v_fmac_f32_e32 v123, 0xbf29c268, v124
	v_dual_fmamk_f32 v124, v126, 0xbeb58ec6, v164 :: v_dual_add_f32 v53, v57, v53
	v_fma_f32 v164, 0xbeb58ec6, v126, -v164
	v_fma_f32 v170, 0x3df6dbef, v126, -v170
	;; [unrolled: 1-line block ×4, first 2 shown]
	v_add_f32_e32 v137, v61, v137
	v_dual_add_f32 v71, v204, v71 :: v_dual_add_f32 v136, v210, v140
	v_add_f32_e32 v140, v212, v144
	v_fmamk_f32 v215, v128, 0xbf29c268, v167
	v_fmac_f32_e32 v167, 0x3f29c268, v128
	v_add_f32_e32 v60, v122, v60
	v_add_f32_e32 v62, v124, v62
	v_add_f32_e32 v124, v172, v138
	v_fmamk_f32 v225, v132, 0xbf7e222b, v177
	v_dual_fmac_f32 v177, 0x3f7e222b, v132 :: v_dual_add_f32 v52, v52, v54
	v_add_f32_e32 v53, v53, v55
	v_dual_fmamk_f32 v125, v128, 0x3f6f5d39, v165 :: v_dual_add_f32 v120, v170, v120
	v_dual_fmac_f32 v165, 0xbf6f5d39, v128 :: v_dual_add_f32 v114, v216, v114
	v_dual_fmamk_f32 v217, v128, 0xbeedf032, v169 :: v_dual_add_f32 v60, v126, v60
	v_fmac_f32_e32 v169, 0x3eedf032, v128
	v_fmamk_f32 v221, v128, 0xbe750f2a, v173
	v_fmamk_f32 v227, v132, 0x3f52af12, v179
	v_dual_fmac_f32 v179, 0xbf52af12, v132 :: v_dual_sub_f32 v126, v48, v50
	v_fmamk_f32 v228, v130, 0xbf788fa5, v180
	v_fmamk_f32 v229, v132, 0xbe750f2a, v181
	v_fma_f32 v180, 0xbf788fa5, v130, -v180
	v_dual_add_f32 v139, v61, v139 :: v_dual_add_f32 v122, v220, v136
	v_add_f32_e32 v187, v61, v189
	v_dual_add_f32 v143, v61, v143 :: v_dual_add_f32 v44, v52, v44
	v_dual_add_f32 v66, v164, v66 :: v_dual_fmac_f32 v171, 0xbf7e222b, v128
	v_add_f32_e32 v71, v214, v71
	v_fmac_f32_e32 v173, 0x3e750f2a, v128
	v_fmamk_f32 v128, v130, 0xbf3f9e67, v174
	v_fma_f32 v174, 0xbf3f9e67, v130, -v174
	v_dual_add_f32 v136, v222, v140 :: v_dual_add_f32 v189, v61, v191
	v_dual_add_f32 v45, v53, v45 :: v_dual_mul_f32 v52, 0xbe750f2a, v135
	v_mul_f32_e32 v53, 0x3eedf032, v135
	v_add_f32_e32 v191, v61, v193
	v_dual_add_f32 v61, v61, v111 :: v_dual_add_f32 v64, v174, v66
	s_delay_alu instid0(VALU_DEP_4) | instskip(SKIP_2) | instid1(VALU_DEP_4)
	v_fma_f32 v50, 0xbf788fa5, v134, -v52
	v_fma_f32 v176, 0x3df6dbef, v130, -v176
	v_fmamk_f32 v231, v132, 0xbeedf032, v183
	v_add_f32_e32 v61, v119, v61
	v_dual_add_f32 v65, v121, v65 :: v_dual_add_f32 v108, v166, v108
	v_dual_add_f32 v50, v50, v64 :: v_dual_mul_f32 v57, 0xbf29c268, v135
	s_delay_alu instid0(VALU_DEP_3) | instskip(SKIP_1) | instid1(VALU_DEP_4)
	v_dual_mul_f32 v64, 0xbf6f5d39, v135 :: v_dual_add_f32 v61, v123, v61
	v_fmamk_f32 v129, v132, 0x3f29c268, v175
	v_dual_add_f32 v65, v125, v65 :: v_dual_add_f32 v118, v218, v118
	s_delay_alu instid0(VALU_DEP_3)
	v_dual_add_f32 v66, v224, v71 :: v_dual_add_f32 v61, v127, v61
	v_dual_add_f32 v71, v176, v108 :: v_dual_add_f32 v108, v226, v114
	v_fmamk_f32 v58, v134, 0xbf3f9e67, v57
	v_fmamk_f32 v233, v132, 0x3f6f5d39, v131
	v_fmac_f32_e32 v131, 0xbf6f5d39, v132
	v_dual_fmac_f32 v175, 0xbf29c268, v132 :: v_dual_add_f32 v62, v128, v62
	v_add_f32_e32 v114, v178, v116
	v_add_f32_e32 v116, v228, v118
	;; [unrolled: 1-line block ×3, first 2 shown]
	v_dual_add_f32 v120, v230, v122 :: v_dual_add_f32 v63, v129, v65
	v_dual_fmamk_f32 v48, v134, 0xbf788fa5, v52 :: v_dual_add_f32 v129, v131, v61
	v_fmamk_f32 v52, v134, 0x3f62ad3f, v53
	v_mul_f32_e32 v61, 0x3f52af12, v135
	s_delay_alu instid0(VALU_DEP_3) | instskip(NEXT) | instid1(VALU_DEP_3)
	v_dual_fmac_f32 v181, 0x3e750f2a, v132 :: v_dual_add_f32 v48, v48, v62
	v_dual_fmac_f32 v183, 0x3eedf032, v132 :: v_dual_add_f32 v52, v52, v66
	s_delay_alu instid0(VALU_DEP_3)
	v_dual_add_f32 v67, v145, v115 :: v_dual_fmamk_f32 v62, v134, 0x3f116cb1, v61
	v_add_f32_e32 v111, v147, v137
	v_add_f32_e32 v115, v197, v185
	;; [unrolled: 1-line block ×3, first 2 shown]
	v_dual_add_f32 v143, v153, v143 :: v_dual_add_f32 v122, v182, v124
	v_add_f32_e32 v124, v232, v136
	v_fma_f32 v56, 0x3f62ad3f, v134, -v53
	v_add_f32_e32 v107, v195, v117
	v_dual_add_f32 v117, v149, v139 :: v_dual_fmamk_f32 v66, v134, 0xbeb58ec6, v64
	v_add_f32_e32 v139, v151, v141
	v_add_f32_e32 v141, v201, v189
	;; [unrolled: 1-line block ×30, first 2 shown]
	v_fma_f32 v49, 0xbeb58ec6, v130, -v133
	s_delay_alu instid0(VALU_DEP_2) | instskip(SKIP_1) | instid1(VALU_DEP_3)
	v_mul_f32_e32 v55, 0x3f62ad3f, v125
	v_mul_f32_e32 v59, 0xbf3f9e67, v125
	v_dual_mul_f32 v51, 0xbf788fa5, v125 :: v_dual_add_f32 v128, v49, v60
	v_fma_f32 v60, 0xbf3f9e67, v134, -v57
	s_delay_alu instid0(VALU_DEP_4) | instskip(SKIP_1) | instid1(VALU_DEP_4)
	v_fmamk_f32 v54, v126, 0xbeedf032, v55
	v_fmac_f32_e32 v55, 0x3eedf032, v126
	v_fmamk_f32 v49, v126, 0x3e750f2a, v51
	v_fmac_f32_e32 v51, 0xbe750f2a, v126
	s_delay_alu instid0(VALU_DEP_4)
	v_add_f32_e32 v53, v54, v67
	v_add_f32_e32 v54, v56, v71
	v_dual_add_f32 v55, v55, v107 :: v_dual_add_f32 v56, v58, v108
	v_fmamk_f32 v58, v126, 0x3f29c268, v59
	v_mul_f32_e32 v107, 0x3f7e222b, v135
	v_add_f32_e32 v49, v49, v63
	v_mul_f32_e32 v63, 0x3f116cb1, v125
	v_add_f32_e32 v51, v51, v65
	v_dual_add_f32 v57, v58, v111 :: v_dual_add_f32 v58, v60, v114
	v_fma_f32 v114, 0x3df6dbef, v134, -v107
	v_dual_add_f32 v145, v203, v191 :: v_dual_add_f32 v60, v62, v116
	v_fmamk_f32 v62, v126, 0xbf52af12, v63
	v_fma_f32 v65, 0x3f116cb1, v134, -v61
	s_delay_alu instid0(VALU_DEP_3)
	v_dual_add_f32 v114, v114, v128 :: v_dual_add_f32 v141, v213, v145
	v_mul_f32_e32 v67, 0xbeb58ec6, v125
	v_fma_f32 v71, 0xbeb58ec6, v134, -v64
	v_mul_f32_e32 v111, 0x3df6dbef, v125
	v_add_f32_e32 v61, v62, v117
	v_dual_add_f32 v137, v223, v141 :: v_dual_add_f32 v62, v65, v118
	v_fmamk_f32 v65, v126, 0x3f6f5d39, v67
	v_dual_fmac_f32 v59, 0xbf29c268, v126 :: v_dual_add_f32 v64, v66, v120
	s_delay_alu instid0(VALU_DEP_3)
	v_dual_add_f32 v127, v233, v137 :: v_dual_add_f32 v66, v71, v122
	v_fmamk_f32 v71, v134, 0x3df6dbef, v107
	v_fmamk_f32 v108, v126, 0xbf7e222b, v111
	v_fmac_f32_e32 v111, 0x3f7e222b, v126
	v_fmac_f32_e32 v63, 0x3f52af12, v126
	;; [unrolled: 1-line block ×3, first 2 shown]
	v_add_f32_e32 v65, v65, v121
	v_add_f32_e32 v59, v59, v115
	v_dual_add_f32 v107, v71, v124 :: v_dual_add_f32 v108, v108, v127
	v_add_f32_e32 v115, v111, v129
	v_add_f32_e32 v63, v63, v119
	;; [unrolled: 1-line block ×3, first 2 shown]
	ds_store_2addr_b64 v112, v[44:45], v[48:49] offset1:1
	ds_store_2addr_b64 v112, v[52:53], v[56:57] offset0:2 offset1:3
	ds_store_2addr_b64 v112, v[60:61], v[64:65] offset0:4 offset1:5
	;; [unrolled: 1-line block ×5, first 2 shown]
	ds_store_b64 v112, v[50:51] offset:96
	global_wb scope:SCOPE_SE
	s_wait_dscnt 0x0
	s_barrier_signal -1
	s_barrier_wait -1
	global_inv scope:SCOPE_SE
	ds_load_2addr_b64 v[48:51], v110 offset1:52
	ds_load_2addr_b64 v[52:55], v110 offset0:104 offset1:156
	ds_load_2addr_b64 v[56:59], v68 offset0:80 offset1:132
	;; [unrolled: 1-line block ×5, first 2 shown]
	ds_load_b64 v[44:45], v110 offset:4992
	global_wb scope:SCOPE_SE
	s_wait_dscnt 0x0
	s_barrier_signal -1
	s_barrier_wait -1
	global_inv scope:SCOPE_SE
	v_mul_f32_e32 v71, v21, v51
	v_mul_f32_e32 v21, v21, v50
	;; [unrolled: 1-line block ×4, first 2 shown]
	s_delay_alu instid0(VALU_DEP_4) | instskip(NEXT) | instid1(VALU_DEP_4)
	v_dual_fmac_f32 v71, v20, v50 :: v_dual_mul_f32 v50, v17, v55
	v_fma_f32 v20, v20, v51, -v21
	s_delay_alu instid0(VALU_DEP_4) | instskip(NEXT) | instid1(VALU_DEP_4)
	v_fmac_f32_e32 v107, v22, v52
	v_fma_f32 v21, v22, v53, -v23
	v_dual_mul_f32 v22, v17, v54 :: v_dual_mul_f32 v23, v19, v57
	v_dual_mul_f32 v19, v19, v56 :: v_dual_fmac_f32 v50, v16, v54
	v_mul_f32_e32 v17, v9, v59
	s_delay_alu instid0(VALU_DEP_3) | instskip(NEXT) | instid1(VALU_DEP_4)
	v_fma_f32 v22, v16, v55, -v22
	v_dual_mul_f32 v16, v9, v58 :: v_dual_fmac_f32 v23, v18, v56
	s_delay_alu instid0(VALU_DEP_4)
	v_fma_f32 v18, v18, v57, -v19
	v_mul_f32_e32 v9, v11, v61
	v_mul_f32_e32 v11, v11, v60
	v_add_f32_e32 v19, v48, v71
	v_add_f32_e32 v51, v49, v20
	v_fmac_f32_e32 v17, v8, v58
	v_fmac_f32_e32 v9, v10, v60
	v_fma_f32 v10, v10, v61, -v11
	v_add_f32_e32 v11, v19, v107
	v_add_f32_e32 v19, v51, v21
	v_fma_f32 v16, v8, v59, -v16
	v_mul_f32_e32 v8, v1, v63
	v_mul_f32_e32 v1, v1, v62
	v_add_f32_e32 v52, v11, v50
	v_add_f32_e32 v19, v19, v22
	s_delay_alu instid0(VALU_DEP_4) | instskip(NEXT) | instid1(VALU_DEP_4)
	v_dual_mul_f32 v51, v3, v65 :: v_dual_fmac_f32 v8, v0, v62
	v_fma_f32 v11, v0, v63, -v1
	s_delay_alu instid0(VALU_DEP_4) | instskip(NEXT) | instid1(VALU_DEP_4)
	v_dual_mul_f32 v0, v3, v64 :: v_dual_add_f32 v1, v52, v23
	v_add_f32_e32 v3, v19, v18
	s_delay_alu instid0(VALU_DEP_4) | instskip(SKIP_1) | instid1(VALU_DEP_4)
	v_fmac_f32_e32 v51, v2, v64
	v_mul_f32_e32 v19, v13, v67
	v_fma_f32 v2, v2, v65, -v0
	v_mul_f32_e32 v0, v13, v66
	v_add_f32_e32 v1, v1, v17
	v_add_f32_e32 v3, v3, v16
	v_fmac_f32_e32 v19, v12, v66
	v_mul_f32_e32 v13, v15, v115
	v_fma_f32 v12, v12, v67, -v0
	s_delay_alu instid0(VALU_DEP_4) | instskip(SKIP_1) | instid1(VALU_DEP_4)
	v_dual_add_f32 v0, v1, v9 :: v_dual_add_f32 v1, v3, v10
	v_mul_f32_e32 v3, v15, v114
	v_fmac_f32_e32 v13, v14, v114
	s_delay_alu instid0(VALU_DEP_3) | instskip(NEXT) | instid1(VALU_DEP_4)
	v_dual_mul_f32 v15, v5, v117 :: v_dual_add_f32 v0, v0, v8
	v_add_f32_e32 v1, v1, v11
	s_delay_alu instid0(VALU_DEP_4) | instskip(SKIP_1) | instid1(VALU_DEP_4)
	v_fma_f32 v3, v14, v115, -v3
	v_mul_f32_e32 v14, v7, v44
	v_dual_mul_f32 v7, v7, v45 :: v_dual_add_f32 v0, v0, v51
	s_delay_alu instid0(VALU_DEP_4) | instskip(SKIP_1) | instid1(VALU_DEP_4)
	v_add_f32_e32 v1, v1, v2
	v_mul_f32_e32 v5, v5, v116
	v_fma_f32 v14, v6, v45, -v14
	s_delay_alu instid0(VALU_DEP_4) | instskip(SKIP_1) | instid1(VALU_DEP_3)
	v_dual_fmac_f32 v7, v6, v44 :: v_dual_add_f32 v0, v0, v19
	v_fmac_f32_e32 v15, v4, v116
	v_dual_add_f32 v1, v1, v12 :: v_dual_sub_f32 v6, v20, v14
	v_fma_f32 v4, v4, v117, -v5
	s_delay_alu instid0(VALU_DEP_4) | instskip(NEXT) | instid1(VALU_DEP_3)
	v_dual_add_f32 v0, v0, v13 :: v_dual_add_f32 v5, v71, v7
	v_dual_add_f32 v1, v1, v3 :: v_dual_mul_f32 v44, 0xbeedf032, v6
	v_add_f32_e32 v20, v20, v14
	s_delay_alu instid0(VALU_DEP_3) | instskip(NEXT) | instid1(VALU_DEP_3)
	v_dual_add_f32 v0, v0, v15 :: v_dual_sub_f32 v111, v21, v4
	v_add_f32_e32 v1, v1, v4
	s_delay_alu instid0(VALU_DEP_4) | instskip(NEXT) | instid1(VALU_DEP_3)
	v_dual_fmamk_f32 v52, v5, 0x3f62ad3f, v44 :: v_dual_sub_f32 v45, v71, v7
	v_dual_mul_f32 v53, 0x3f62ad3f, v20 :: v_dual_add_f32 v0, v0, v7
	v_mul_f32_e32 v54, 0x3f116cb1, v20
	s_delay_alu instid0(VALU_DEP_3)
	v_dual_add_f32 v7, v48, v52 :: v_dual_mul_f32 v52, 0xbf52af12, v6
	v_mul_f32_e32 v57, 0xbf7e222b, v6
	v_mul_f32_e32 v59, 0x3df6dbef, v20
	;; [unrolled: 1-line block ×8, first 2 shown]
	v_add_f32_e32 v114, v107, v15
	v_dual_mul_f32 v115, 0xbf52af12, v111 :: v_dual_add_f32 v4, v21, v4
	v_add_f32_e32 v1, v1, v14
	v_fmamk_f32 v14, v45, 0x3eedf032, v53
	v_fma_f32 v44, 0x3f62ad3f, v5, -v44
	v_fmac_f32_e32 v53, 0xbeedf032, v45
	v_fmamk_f32 v55, v5, 0x3f116cb1, v52
	v_fmamk_f32 v56, v45, 0x3f52af12, v54
	v_fma_f32 v52, 0x3f116cb1, v5, -v52
	v_fmac_f32_e32 v54, 0xbf52af12, v45
	v_fmamk_f32 v58, v5, 0x3df6dbef, v57
	v_fmamk_f32 v61, v45, 0x3f7e222b, v59
	v_fma_f32 v57, 0x3df6dbef, v5, -v57
	v_fmac_f32_e32 v59, 0xbf7e222b, v45
	v_fmamk_f32 v62, v5, 0xbeb58ec6, v60
	v_fmamk_f32 v64, v45, 0x3f6f5d39, v63
	v_fma_f32 v60, 0xbeb58ec6, v5, -v60
	v_fmac_f32_e32 v63, 0xbf6f5d39, v45
	v_fmamk_f32 v67, v5, 0xbf3f9e67, v65
	v_fmamk_f32 v71, v45, 0x3f29c268, v66
	v_fma_f32 v65, 0xbf3f9e67, v5, -v65
	v_fmac_f32_e32 v66, 0xbf29c268, v45
	v_fmamk_f32 v108, v5, 0xbf788fa5, v6
	v_fmamk_f32 v112, v45, 0x3e750f2a, v20
	v_fma_f32 v5, 0xbf788fa5, v5, -v6
	v_fmac_f32_e32 v20, 0xbe750f2a, v45
	v_dual_sub_f32 v6, v107, v15 :: v_dual_fmamk_f32 v15, v114, 0x3f116cb1, v115
	v_dual_mul_f32 v21, 0x3f116cb1, v4 :: v_dual_add_f32 v14, v49, v14
	v_dual_add_f32 v44, v48, v44 :: v_dual_add_f32 v53, v49, v53
	v_dual_add_f32 v55, v48, v55 :: v_dual_add_f32 v56, v49, v56
	v_add_f32_e32 v52, v48, v52
	v_add_f32_e32 v54, v49, v54
	v_dual_add_f32 v58, v48, v58 :: v_dual_add_f32 v61, v49, v61
	v_add_f32_e32 v57, v48, v57
	v_dual_add_f32 v59, v49, v59 :: v_dual_add_f32 v62, v48, v62
	;; [unrolled: 2-line block ×3, first 2 shown]
	v_add_f32_e32 v67, v48, v67
	v_add_f32_e32 v71, v49, v71
	v_dual_add_f32 v65, v48, v65 :: v_dual_add_f32 v66, v49, v66
	v_add_f32_e32 v108, v48, v108
	v_add_f32_e32 v45, v49, v112
	v_dual_add_f32 v5, v48, v5 :: v_dual_add_f32 v20, v49, v20
	v_add_f32_e32 v7, v15, v7
	v_fmamk_f32 v15, v6, 0x3f52af12, v21
	v_mul_f32_e32 v48, 0xbf6f5d39, v111
	v_fma_f32 v49, 0x3f116cb1, v114, -v115
	v_fmac_f32_e32 v21, 0xbf52af12, v6
	s_delay_alu instid0(VALU_DEP_4) | instskip(NEXT) | instid1(VALU_DEP_3)
	v_dual_mul_f32 v107, 0xbeb58ec6, v4 :: v_dual_add_f32 v14, v15, v14
	v_dual_fmamk_f32 v15, v114, 0xbeb58ec6, v48 :: v_dual_add_f32 v44, v49, v44
	s_delay_alu instid0(VALU_DEP_3) | instskip(NEXT) | instid1(VALU_DEP_3)
	v_add_f32_e32 v21, v21, v53
	v_fmamk_f32 v49, v6, 0x3f6f5d39, v107
	v_mul_f32_e32 v53, 0xbe750f2a, v111
	s_delay_alu instid0(VALU_DEP_4) | instskip(SKIP_4) | instid1(VALU_DEP_4)
	v_add_f32_e32 v15, v15, v55
	v_fma_f32 v48, 0xbeb58ec6, v114, -v48
	v_fmac_f32_e32 v107, 0xbf6f5d39, v6
	v_add_f32_e32 v49, v49, v56
	v_dual_fmamk_f32 v55, v114, 0xbf788fa5, v53 :: v_dual_mul_f32 v56, 0xbf788fa5, v4
	v_add_f32_e32 v48, v48, v52
	s_delay_alu instid0(VALU_DEP_4) | instskip(NEXT) | instid1(VALU_DEP_3)
	v_add_f32_e32 v52, v107, v54
	v_dual_mul_f32 v54, 0x3f29c268, v111 :: v_dual_add_f32 v55, v55, v58
	s_delay_alu instid0(VALU_DEP_4)
	v_fmamk_f32 v58, v6, 0x3e750f2a, v56
	v_fmac_f32_e32 v56, 0xbe750f2a, v6
	v_mul_f32_e32 v112, 0xbf3f9e67, v4
	v_fma_f32 v53, 0xbf788fa5, v114, -v53
	v_fmamk_f32 v107, v114, 0xbf3f9e67, v54
	v_add_f32_e32 v58, v58, v61
	s_delay_alu instid0(VALU_DEP_4)
	v_dual_add_f32 v56, v56, v59 :: v_dual_fmamk_f32 v59, v6, 0xbf29c268, v112
	v_mul_f32_e32 v61, 0x3f7e222b, v111
	v_add_f32_e32 v53, v53, v57
	v_add_f32_e32 v57, v107, v62
	v_fma_f32 v54, 0xbf3f9e67, v114, -v54
	v_mul_f32_e32 v62, 0x3df6dbef, v4
	v_dual_add_f32 v59, v59, v64 :: v_dual_fmamk_f32 v64, v114, 0x3df6dbef, v61
	v_mul_f32_e32 v107, 0x3eedf032, v111
	v_fma_f32 v61, 0x3df6dbef, v114, -v61
	v_add_f32_e32 v54, v54, v60
	v_fmamk_f32 v60, v6, 0xbf7e222b, v62
	v_add_f32_e32 v64, v64, v67
	v_fmac_f32_e32 v62, 0x3f7e222b, v6
	v_fmamk_f32 v67, v114, 0x3f62ad3f, v107
	v_add_f32_e32 v61, v61, v65
	v_sub_f32_e32 v65, v22, v3
	v_add_f32_e32 v60, v60, v71
	v_mul_f32_e32 v4, 0x3f62ad3f, v4
	v_add_f32_e32 v62, v62, v66
	v_dual_add_f32 v66, v67, v108 :: v_dual_add_f32 v71, v50, v13
	v_dual_mul_f32 v108, 0xbf7e222b, v65 :: v_dual_add_f32 v3, v22, v3
	v_fmac_f32_e32 v112, 0x3f29c268, v6
	v_fmamk_f32 v67, v6, 0xbeedf032, v4
	v_fmac_f32_e32 v4, 0x3eedf032, v6
	s_delay_alu instid0(VALU_DEP_4) | instskip(SKIP_2) | instid1(VALU_DEP_4)
	v_dual_sub_f32 v6, v50, v13 :: v_dual_fmamk_f32 v13, v71, 0x3df6dbef, v108
	v_mul_f32_e32 v50, 0x3df6dbef, v3
	v_fma_f32 v22, 0x3f62ad3f, v114, -v107
	v_add_f32_e32 v4, v4, v20
	s_delay_alu instid0(VALU_DEP_4) | instskip(NEXT) | instid1(VALU_DEP_4)
	v_dual_mul_f32 v20, 0xbe750f2a, v65 :: v_dual_add_f32 v7, v13, v7
	v_fmamk_f32 v13, v6, 0x3f7e222b, v50
	v_add_f32_e32 v45, v67, v45
	v_add_f32_e32 v5, v22, v5
	v_fma_f32 v22, 0x3df6dbef, v71, -v108
	v_fmac_f32_e32 v50, 0xbf7e222b, v6
	v_mul_f32_e32 v67, 0xbf788fa5, v3
	v_dual_add_f32 v13, v13, v14 :: v_dual_fmamk_f32 v14, v71, 0xbf788fa5, v20
	s_delay_alu instid0(VALU_DEP_4) | instskip(NEXT) | instid1(VALU_DEP_4)
	v_add_f32_e32 v22, v22, v44
	v_add_f32_e32 v21, v50, v21
	s_delay_alu instid0(VALU_DEP_4) | instskip(SKIP_3) | instid1(VALU_DEP_4)
	v_fmamk_f32 v44, v6, 0x3e750f2a, v67
	v_mul_f32_e32 v50, 0x3f6f5d39, v65
	v_add_f32_e32 v14, v14, v15
	v_fma_f32 v15, 0xbf788fa5, v71, -v20
	v_dual_fmac_f32 v67, 0xbe750f2a, v6 :: v_dual_add_f32 v20, v44, v49
	s_delay_alu instid0(VALU_DEP_4) | instskip(NEXT) | instid1(VALU_DEP_3)
	v_dual_fmamk_f32 v44, v71, 0xbeb58ec6, v50 :: v_dual_mul_f32 v49, 0xbeb58ec6, v3
	v_add_f32_e32 v15, v15, v48
	s_delay_alu instid0(VALU_DEP_3) | instskip(SKIP_1) | instid1(VALU_DEP_4)
	v_add_f32_e32 v48, v67, v52
	v_mul_f32_e32 v52, 0x3eedf032, v65
	v_dual_add_f32 v44, v44, v55 :: v_dual_fmamk_f32 v55, v6, 0xbf6f5d39, v49
	v_fma_f32 v50, 0xbeb58ec6, v71, -v50
	v_fmac_f32_e32 v49, 0x3f6f5d39, v6
	s_delay_alu instid0(VALU_DEP_4) | instskip(SKIP_1) | instid1(VALU_DEP_4)
	v_fmamk_f32 v67, v71, 0x3f62ad3f, v52
	v_mul_f32_e32 v107, 0x3f62ad3f, v3
	v_dual_add_f32 v55, v55, v58 :: v_dual_add_f32 v50, v50, v53
	s_delay_alu instid0(VALU_DEP_4) | instskip(NEXT) | instid1(VALU_DEP_3)
	v_add_f32_e32 v49, v49, v56
	v_dual_add_f32 v53, v67, v57 :: v_dual_fmamk_f32 v56, v6, 0xbeedf032, v107
	v_mul_f32_e32 v57, 0xbf52af12, v65
	v_fma_f32 v52, 0x3f62ad3f, v71, -v52
	v_mul_f32_e32 v58, 0x3f116cb1, v3
	s_delay_alu instid0(VALU_DEP_4) | instskip(NEXT) | instid1(VALU_DEP_3)
	v_dual_mul_f32 v65, 0xbf29c268, v65 :: v_dual_add_f32 v56, v56, v59
	v_dual_fmamk_f32 v59, v71, 0x3f116cb1, v57 :: v_dual_add_f32 v52, v52, v54
	s_delay_alu instid0(VALU_DEP_3) | instskip(SKIP_1) | instid1(VALU_DEP_3)
	v_fmamk_f32 v54, v6, 0x3f52af12, v58
	v_fma_f32 v57, 0x3f116cb1, v71, -v57
	v_dual_fmac_f32 v58, 0xbf52af12, v6 :: v_dual_add_f32 v59, v59, v64
	s_delay_alu instid0(VALU_DEP_3) | instskip(NEXT) | instid1(VALU_DEP_3)
	v_dual_mul_f32 v3, 0xbf3f9e67, v3 :: v_dual_add_f32 v54, v54, v60
	v_dual_fmamk_f32 v60, v71, 0xbf3f9e67, v65 :: v_dual_add_f32 v57, v57, v61
	v_sub_f32_e32 v61, v18, v12
	v_add_f32_e32 v12, v18, v12
	v_add_f32_e32 v64, v23, v19
	s_delay_alu instid0(VALU_DEP_4)
	v_add_f32_e32 v60, v60, v66
	v_fmac_f32_e32 v107, 0x3eedf032, v6
	v_mul_f32_e32 v66, 0xbf6f5d39, v61
	v_add_f32_e32 v58, v58, v62
	v_fmamk_f32 v62, v6, 0x3f29c268, v3
	v_fma_f32 v18, 0xbf3f9e67, v71, -v65
	v_dual_fmac_f32 v3, 0xbf29c268, v6 :: v_dual_sub_f32 v6, v23, v19
	v_fmamk_f32 v19, v64, 0xbeb58ec6, v66
	v_mul_f32_e32 v23, 0xbeb58ec6, v12
	s_delay_alu instid0(VALU_DEP_4) | instskip(NEXT) | instid1(VALU_DEP_4)
	v_add_f32_e32 v5, v18, v5
	v_dual_add_f32 v3, v3, v4 :: v_dual_mul_f32 v18, 0x3f29c268, v61
	s_delay_alu instid0(VALU_DEP_3) | instskip(SKIP_3) | instid1(VALU_DEP_4)
	v_dual_add_f32 v4, v19, v7 :: v_dual_fmamk_f32 v7, v6, 0x3f6f5d39, v23
	v_add_f32_e32 v45, v62, v45
	v_fma_f32 v19, 0xbeb58ec6, v64, -v66
	v_fmac_f32_e32 v23, 0xbf6f5d39, v6
	v_dual_mul_f32 v62, 0xbf3f9e67, v12 :: v_dual_add_f32 v7, v7, v13
	v_fmamk_f32 v13, v64, 0xbf3f9e67, v18
	s_delay_alu instid0(VALU_DEP_4) | instskip(NEXT) | instid1(VALU_DEP_3)
	v_add_f32_e32 v19, v19, v22
	v_dual_add_f32 v21, v23, v21 :: v_dual_fmamk_f32 v22, v6, 0xbf29c268, v62
	v_mul_f32_e32 v23, 0x3eedf032, v61
	s_delay_alu instid0(VALU_DEP_4)
	v_add_f32_e32 v13, v13, v14
	v_fma_f32 v14, 0xbf3f9e67, v64, -v18
	v_fmac_f32_e32 v62, 0x3f29c268, v6
	v_add_f32_e32 v18, v22, v20
	v_fmamk_f32 v20, v64, 0x3f62ad3f, v23
	v_mul_f32_e32 v22, 0x3f62ad3f, v12
	v_add_f32_e32 v14, v14, v15
	v_dual_add_f32 v15, v62, v48 :: v_dual_mul_f32 v48, 0xbf7e222b, v61
	s_delay_alu instid0(VALU_DEP_4) | instskip(NEXT) | instid1(VALU_DEP_4)
	v_add_f32_e32 v20, v20, v44
	v_fmamk_f32 v44, v6, 0xbeedf032, v22
	v_fma_f32 v23, 0x3f62ad3f, v64, -v23
	v_fmac_f32_e32 v22, 0x3eedf032, v6
	v_dual_fmamk_f32 v62, v64, 0x3df6dbef, v48 :: v_dual_mul_f32 v65, 0x3df6dbef, v12
	s_delay_alu instid0(VALU_DEP_3) | instskip(NEXT) | instid1(VALU_DEP_3)
	v_dual_add_f32 v44, v44, v55 :: v_dual_add_f32 v23, v23, v50
	v_add_f32_e32 v22, v22, v49
	s_delay_alu instid0(VALU_DEP_3) | instskip(NEXT) | instid1(VALU_DEP_4)
	v_add_f32_e32 v49, v62, v53
	v_fmamk_f32 v50, v6, 0x3f7e222b, v65
	v_mul_f32_e32 v53, 0x3e750f2a, v61
	v_fma_f32 v48, 0x3df6dbef, v64, -v48
	v_mul_f32_e32 v55, 0xbf788fa5, v12
	s_delay_alu instid0(VALU_DEP_4) | instskip(NEXT) | instid1(VALU_DEP_4)
	v_dual_mul_f32 v61, 0x3f52af12, v61 :: v_dual_add_f32 v50, v50, v56
	v_fmamk_f32 v56, v64, 0xbf788fa5, v53
	s_delay_alu instid0(VALU_DEP_4) | instskip(NEXT) | instid1(VALU_DEP_4)
	v_add_f32_e32 v48, v48, v52
	v_fmamk_f32 v52, v6, 0xbe750f2a, v55
	v_fma_f32 v53, 0xbf788fa5, v64, -v53
	v_fmac_f32_e32 v55, 0x3e750f2a, v6
	v_mul_f32_e32 v12, 0x3f116cb1, v12
	v_fmac_f32_e32 v65, 0xbf7e222b, v6
	v_add_f32_e32 v52, v52, v54
	v_dual_fmamk_f32 v54, v64, 0x3f116cb1, v61 :: v_dual_add_f32 v53, v53, v57
	v_sub_f32_e32 v57, v16, v2
	v_add_f32_e32 v2, v16, v2
	v_dual_add_f32 v56, v56, v59 :: v_dual_add_f32 v55, v55, v58
	s_delay_alu instid0(VALU_DEP_4)
	v_add_f32_e32 v54, v54, v60
	v_dual_fmamk_f32 v58, v6, 0xbf52af12, v12 :: v_dual_add_f32 v59, v17, v51
	v_mul_f32_e32 v60, 0xbf29c268, v57
	v_fma_f32 v16, 0x3f116cb1, v64, -v61
	v_fmac_f32_e32 v12, 0x3f52af12, v6
	v_dual_sub_f32 v6, v17, v51 :: v_dual_mul_f32 v51, 0xbf3f9e67, v2
	s_delay_alu instid0(VALU_DEP_4) | instskip(NEXT) | instid1(VALU_DEP_4)
	v_fmamk_f32 v17, v59, 0xbf3f9e67, v60
	v_add_f32_e32 v5, v16, v5
	s_delay_alu instid0(VALU_DEP_4) | instskip(NEXT) | instid1(VALU_DEP_4)
	v_dual_add_f32 v3, v12, v3 :: v_dual_mul_f32 v16, 0x3f7e222b, v57
	v_fmamk_f32 v12, v6, 0x3f29c268, v51
	s_delay_alu instid0(VALU_DEP_4) | instskip(SKIP_2) | instid1(VALU_DEP_4)
	v_dual_add_f32 v45, v58, v45 :: v_dual_add_f32 v4, v17, v4
	v_fma_f32 v17, 0xbf3f9e67, v59, -v60
	v_fmac_f32_e32 v51, 0xbf29c268, v6
	v_dual_mul_f32 v58, 0x3df6dbef, v2 :: v_dual_add_f32 v7, v12, v7
	s_delay_alu instid0(VALU_DEP_3) | instskip(NEXT) | instid1(VALU_DEP_3)
	v_dual_fmamk_f32 v12, v59, 0x3df6dbef, v16 :: v_dual_add_f32 v17, v17, v19
	v_add_f32_e32 v19, v51, v21
	s_delay_alu instid0(VALU_DEP_3) | instskip(SKIP_1) | instid1(VALU_DEP_4)
	v_fmamk_f32 v21, v6, 0xbf7e222b, v58
	v_mul_f32_e32 v51, 0xbf52af12, v57
	v_add_f32_e32 v12, v12, v13
	v_fma_f32 v13, 0x3df6dbef, v59, -v16
	v_fmac_f32_e32 v58, 0x3f7e222b, v6
	v_add_f32_e32 v16, v21, v18
	v_dual_fmamk_f32 v18, v59, 0x3f116cb1, v51 :: v_dual_mul_f32 v21, 0x3f116cb1, v2
	s_delay_alu instid0(VALU_DEP_3) | instskip(NEXT) | instid1(VALU_DEP_2)
	v_dual_add_f32 v13, v13, v14 :: v_dual_add_f32 v14, v58, v15
	v_dual_mul_f32 v15, 0x3e750f2a, v57 :: v_dual_add_f32 v18, v18, v20
	s_delay_alu instid0(VALU_DEP_3) | instskip(SKIP_2) | instid1(VALU_DEP_4)
	v_fmamk_f32 v20, v6, 0x3f52af12, v21
	v_fmac_f32_e32 v21, 0xbf52af12, v6
	v_mul_f32_e32 v60, 0xbf788fa5, v2
	v_fmamk_f32 v58, v59, 0xbf788fa5, v15
	v_fma_f32 v51, 0x3f116cb1, v59, -v51
	s_delay_alu instid0(VALU_DEP_4) | instskip(NEXT) | instid1(VALU_DEP_4)
	v_dual_add_f32 v20, v20, v44 :: v_dual_add_f32 v21, v21, v22
	v_fmamk_f32 v44, v6, 0xbe750f2a, v60
	s_delay_alu instid0(VALU_DEP_4)
	v_add_f32_e32 v22, v58, v49
	v_mul_f32_e32 v49, 0x3eedf032, v57
	v_add_f32_e32 v63, v112, v63
	v_add_f32_e32 v23, v51, v23
	v_fma_f32 v15, 0xbf788fa5, v59, -v15
	v_mul_f32_e32 v51, 0x3f62ad3f, v2
	v_add_f32_e32 v50, v44, v50
	v_fmamk_f32 v44, v59, 0x3f62ad3f, v49
	v_add_f32_e32 v63, v107, v63
	s_delay_alu instid0(VALU_DEP_4) | instskip(NEXT) | instid1(VALU_DEP_3)
	v_dual_add_f32 v15, v15, v48 :: v_dual_fmamk_f32 v48, v6, 0xbeedf032, v51
	v_dual_mul_f32 v57, 0xbf6f5d39, v57 :: v_dual_add_f32 v56, v44, v56
	v_fma_f32 v44, 0x3f62ad3f, v59, -v49
	s_delay_alu instid0(VALU_DEP_4) | instskip(SKIP_2) | instid1(VALU_DEP_4)
	v_add_f32_e32 v62, v65, v63
	v_fmac_f32_e32 v60, 0x3e750f2a, v6
	v_dual_add_f32 v48, v48, v52 :: v_dual_fmac_f32 v51, 0x3eedf032, v6
	v_dual_fmamk_f32 v49, v59, 0xbeb58ec6, v57 :: v_dual_add_f32 v52, v44, v53
	s_delay_alu instid0(VALU_DEP_3) | instskip(NEXT) | instid1(VALU_DEP_3)
	v_dual_sub_f32 v53, v10, v11 :: v_dual_add_f32 v58, v60, v62
	v_dual_mul_f32 v2, 0xbeb58ec6, v2 :: v_dual_add_f32 v51, v51, v55
	s_delay_alu instid0(VALU_DEP_3) | instskip(NEXT) | instid1(VALU_DEP_3)
	v_add_f32_e32 v49, v49, v54
	v_dual_add_f32 v54, v9, v8 :: v_dual_mul_f32 v55, 0xbe750f2a, v53
	v_add_f32_e32 v60, v10, v11
	v_fma_f32 v10, 0xbeb58ec6, v59, -v57
	v_fmamk_f32 v44, v6, 0x3f6f5d39, v2
	v_dual_fmac_f32 v2, 0xbf6f5d39, v6 :: v_dual_sub_f32 v57, v9, v8
	v_fmamk_f32 v6, v54, 0xbf788fa5, v55
	s_delay_alu instid0(VALU_DEP_4) | instskip(NEXT) | instid1(VALU_DEP_3)
	v_dual_mul_f32 v8, 0xbf788fa5, v60 :: v_dual_add_f32 v61, v10, v5
	v_dual_mul_f32 v5, 0x3eedf032, v53 :: v_dual_add_f32 v62, v2, v3
	s_delay_alu instid0(VALU_DEP_2) | instskip(SKIP_1) | instid1(VALU_DEP_3)
	v_dual_add_f32 v2, v6, v4 :: v_dual_fmamk_f32 v3, v57, 0x3e750f2a, v8
	v_fma_f32 v4, 0xbf788fa5, v54, -v55
	v_dual_mul_f32 v9, 0x3f62ad3f, v60 :: v_dual_fmamk_f32 v6, v54, 0x3f62ad3f, v5
	v_add_f32_e32 v59, v44, v45
	s_delay_alu instid0(VALU_DEP_4) | instskip(NEXT) | instid1(VALU_DEP_3)
	v_dual_fmac_f32 v8, 0xbe750f2a, v57 :: v_dual_add_f32 v3, v3, v7
	v_dual_add_f32 v44, v4, v17 :: v_dual_fmamk_f32 v7, v57, 0xbeedf032, v9
	v_mul_f32_e32 v10, 0xbf29c268, v53
	v_add_f32_e32 v4, v6, v12
	v_fma_f32 v6, 0x3f62ad3f, v54, -v5
	v_fmac_f32_e32 v9, 0x3eedf032, v57
	v_mul_f32_e32 v11, 0xbf3f9e67, v60
	v_add_f32_e32 v45, v8, v19
	v_dual_add_f32 v5, v7, v16 :: v_dual_fmamk_f32 v8, v54, 0xbf3f9e67, v10
	s_delay_alu instid0(VALU_DEP_4)
	v_dual_add_f32 v6, v6, v13 :: v_dual_add_f32 v7, v9, v14
	v_mul_f32_e32 v13, 0x3f52af12, v53
	v_fmamk_f32 v9, v57, 0x3f29c268, v11
	v_mul_f32_e32 v16, 0x3f116cb1, v60
	v_dual_mul_f32 v17, 0xbf6f5d39, v53 :: v_dual_add_f32 v8, v8, v18
	v_fma_f32 v10, 0xbf3f9e67, v54, -v10
	v_fmac_f32_e32 v11, 0xbf29c268, v57
	v_add_f32_e32 v9, v9, v20
	v_fmamk_f32 v14, v57, 0xbf52af12, v16
	v_fma_f32 v18, 0x3f116cb1, v54, -v13
	v_fmac_f32_e32 v16, 0x3f52af12, v57
	v_dual_mul_f32 v19, 0xbeb58ec6, v60 :: v_dual_fmamk_f32 v20, v54, 0xbeb58ec6, v17
	v_fmamk_f32 v12, v54, 0x3f116cb1, v13
	v_dual_add_f32 v10, v10, v23 :: v_dual_add_f32 v11, v11, v21
	v_add_f32_e32 v13, v14, v50
	v_dual_add_f32 v14, v18, v15 :: v_dual_add_f32 v15, v16, v58
	v_fmamk_f32 v18, v57, 0x3f6f5d39, v19
	v_fma_f32 v21, 0xbeb58ec6, v54, -v17
	v_add_f32_e32 v16, v20, v56
	v_mul_f32_e32 v20, 0x3f7e222b, v53
	v_dual_mul_f32 v23, 0x3df6dbef, v60 :: v_dual_add_f32 v12, v12, v22
	v_add_f32_e32 v17, v18, v48
	s_delay_alu instid0(VALU_DEP_3) | instskip(NEXT) | instid1(VALU_DEP_3)
	v_dual_add_f32 v18, v21, v52 :: v_dual_fmamk_f32 v21, v54, 0x3df6dbef, v20
	v_fmamk_f32 v22, v57, 0xbf7e222b, v23
	v_fma_f32 v48, 0x3df6dbef, v54, -v20
	v_fmac_f32_e32 v23, 0x3f7e222b, v57
	v_fmac_f32_e32 v19, 0xbf6f5d39, v57
	s_delay_alu instid0(VALU_DEP_4) | instskip(NEXT) | instid1(VALU_DEP_3)
	v_dual_add_f32 v20, v21, v49 :: v_dual_add_f32 v21, v22, v59
	v_dual_add_f32 v22, v48, v61 :: v_dual_add_f32 v23, v23, v62
	s_delay_alu instid0(VALU_DEP_3)
	v_add_f32_e32 v19, v19, v51
	ds_store_2addr_b64 v113, v[0:1], v[2:3] offset1:13
	ds_store_2addr_b64 v113, v[4:5], v[8:9] offset0:26 offset1:39
	ds_store_2addr_b64 v113, v[12:13], v[16:17] offset0:52 offset1:65
	;; [unrolled: 1-line block ×5, first 2 shown]
	ds_store_b64 v113, v[44:45] offset:1248
	global_wb scope:SCOPE_SE
	s_wait_dscnt 0x0
	s_barrier_signal -1
	s_barrier_wait -1
	global_inv scope:SCOPE_SE
	ds_load_2addr_b64 v[4:7], v110 offset1:52
	ds_load_2addr_b64 v[0:3], v110 offset0:104 offset1:169
	ds_load_2addr_b64 v[20:23], v70 offset0:82 offset1:134
	;; [unrolled: 1-line block ×5, first 2 shown]
	s_and_saveexec_b32 s0, vcc_lo
	s_cbranch_execz .LBB0_7
; %bb.6:
	v_add_nc_u32_e32 v40, 0xe00, v110
	ds_load_2addr_b64 v[44:47], v68 offset0:28 offset1:197
	ds_load_2addr_b64 v[40:43], v40 offset0:46 offset1:215
.LBB0_7:
	s_wait_alu 0xfffe
	s_or_b32 exec_lo, exec_lo, s0
	s_wait_dscnt 0x3
	v_dual_mul_f32 v48, v29, v3 :: v_dual_mul_f32 v49, v31, v21
	s_wait_dscnt 0x2
	v_dual_mul_f32 v29, v29, v2 :: v_dual_mul_f32 v50, v106, v15
	s_delay_alu instid0(VALU_DEP_2) | instskip(SKIP_1) | instid1(VALU_DEP_3)
	v_dual_mul_f32 v31, v31, v20 :: v_dual_fmac_f32 v48, v28, v2
	v_mul_f32_e32 v2, v106, v14
	v_fma_f32 v3, v28, v3, -v29
	s_delay_alu instid0(VALU_DEP_4)
	v_dual_fmac_f32 v49, v30, v20 :: v_dual_fmac_f32 v50, v105, v14
	s_wait_dscnt 0x1
	v_mul_f32_e32 v14, v33, v17
	s_wait_dscnt 0x0
	v_dual_mul_f32 v28, v35, v22 :: v_dual_mul_f32 v29, v104, v9
	v_fma_f32 v20, v30, v21, -v31
	v_fma_f32 v2, v105, v15, -v2
	v_mul_f32_e32 v15, v33, v16
	v_dual_mul_f32 v21, v35, v23 :: v_dual_fmac_f32 v14, v32, v16
	v_fma_f32 v16, v34, v23, -v28
	v_fmac_f32_e32 v29, v103, v8
	v_dual_mul_f32 v8, v104, v8 :: v_dual_mul_f32 v23, v39, v13
	v_sub_f32_e32 v20, v5, v20
	v_fma_f32 v15, v32, v17, -v15
	v_fmac_f32_e32 v21, v34, v22
	v_mul_f32_e32 v17, v37, v19
	v_mul_f32_e32 v22, v37, v18
	v_mul_f32_e32 v28, v39, v12
	v_fma_f32 v8, v103, v9, -v8
	v_dual_fmac_f32 v23, v38, v12 :: v_dual_sub_f32 v12, v4, v49
	v_dual_sub_f32 v9, v48, v50 :: v_dual_sub_f32 v30, v7, v16
	v_fmac_f32_e32 v17, v36, v18
	v_fma_f32 v18, v36, v19, -v22
	v_dual_mul_f32 v19, v102, v11 :: v_dual_sub_f32 v22, v3, v2
	v_fma_f32 v4, v4, 2.0, -v12
	v_fma_f32 v2, v48, 2.0, -v9
	v_sub_f32_e32 v21, v6, v21
	v_sub_f32_e32 v29, v14, v29
	v_fma_f32 v13, v38, v13, -v28
	v_fma_f32 v5, v5, 2.0, -v20
	v_sub_f32_e32 v2, v4, v2
	v_fma_f32 v3, v3, 2.0, -v22
	v_mul_f32_e32 v28, v102, v10
	v_fma_f32 v16, v6, 2.0, -v21
	v_dual_sub_f32 v31, v15, v8 :: v_dual_add_f32 v8, v12, v22
	v_fma_f32 v6, v14, 2.0, -v29
	v_sub_f32_e32 v3, v5, v3
	v_fma_f32 v28, v101, v11, -v28
	v_fmac_f32_e32 v19, v101, v10
	v_fma_f32 v22, v7, 2.0, -v30
	v_sub_f32_e32 v6, v16, v6
	v_dual_sub_f32 v9, v20, v9 :: v_dual_add_f32 v14, v21, v31
	v_fma_f32 v7, v15, 2.0, -v31
	v_dual_sub_f32 v23, v0, v23 :: v_dual_sub_f32 v32, v1, v13
	s_delay_alu instid0(VALU_DEP_3) | instskip(SKIP_1) | instid1(VALU_DEP_4)
	v_fma_f32 v11, v20, 2.0, -v9
	v_sub_f32_e32 v20, v18, v28
	v_sub_f32_e32 v7, v22, v7
	s_delay_alu instid0(VALU_DEP_4)
	v_fma_f32 v28, v0, 2.0, -v23
	v_sub_f32_e32 v19, v17, v19
	v_fma_f32 v31, v1, 2.0, -v32
	v_fma_f32 v10, v12, 2.0, -v8
	;; [unrolled: 1-line block ×3, first 2 shown]
	v_sub_f32_e32 v15, v30, v29
	v_fma_f32 v1, v17, 2.0, -v19
	v_fma_f32 v17, v18, 2.0, -v20
	v_add_f32_e32 v18, v23, v20
	v_fma_f32 v4, v4, 2.0, -v2
	v_fma_f32 v5, v5, 2.0, -v3
	v_sub_f32_e32 v16, v28, v1
	v_sub_f32_e32 v17, v31, v17
	v_sub_f32_e32 v19, v32, v19
	v_fma_f32 v13, v22, 2.0, -v7
	v_fma_f32 v0, v21, 2.0, -v14
	;; [unrolled: 1-line block ×7, first 2 shown]
	ds_store_b64 v110, v[10:11] offset:1352
	ds_store_b64 v110, v[2:3] offset:2704
	;; [unrolled: 1-line block ×3, first 2 shown]
	ds_store_2addr_b64 v110, v[4:5], v[12:13] offset1:52
	ds_store_b64 v110, v[14:15] offset:4472
	ds_store_b64 v110, v[6:7] offset:3120
	;; [unrolled: 1-line block ×3, first 2 shown]
	ds_store_2addr_b64 v68, v[0:1], v[22:23] offset0:93 offset1:145
	ds_store_b64 v110, v[16:17] offset:3536
	ds_store_b64 v110, v[18:19] offset:4888
	s_and_saveexec_b32 s0, vcc_lo
	s_cbranch_execz .LBB0_9
; %bb.8:
	v_dual_mul_f32 v0, v27, v40 :: v_dual_mul_f32 v1, v25, v47
	v_dual_mul_f32 v2, v27, v41 :: v_dual_mul_f32 v3, v25, v46
	v_mul_f32_e32 v5, v100, v43
	s_delay_alu instid0(VALU_DEP_3) | instskip(NEXT) | instid1(VALU_DEP_3)
	v_fma_f32 v0, v26, v41, -v0
	v_dual_fmac_f32 v1, v24, v46 :: v_dual_fmac_f32 v2, v26, v40
	s_delay_alu instid0(VALU_DEP_4) | instskip(NEXT) | instid1(VALU_DEP_3)
	v_fma_f32 v3, v24, v47, -v3
	v_dual_sub_f32 v6, v45, v0 :: v_dual_add_nc_u32 v9, 0xe00, v110
	s_delay_alu instid0(VALU_DEP_1) | instskip(SKIP_1) | instid1(VALU_DEP_1)
	v_fma_f32 v7, v45, 2.0, -v6
	v_mul_f32_e32 v4, v100, v42
	v_fma_f32 v4, v99, v43, -v4
	s_delay_alu instid0(VALU_DEP_1) | instskip(SKIP_2) | instid1(VALU_DEP_3)
	v_sub_f32_e32 v0, v3, v4
	v_sub_f32_e32 v4, v44, v2
	v_fmac_f32_e32 v5, v99, v42
	v_fma_f32 v3, v3, 2.0, -v0
	s_delay_alu instid0(VALU_DEP_3) | instskip(NEXT) | instid1(VALU_DEP_3)
	v_add_f32_e32 v0, v4, v0
	v_sub_f32_e32 v2, v1, v5
	v_fma_f32 v8, v44, 2.0, -v4
	s_delay_alu instid0(VALU_DEP_4) | instskip(NEXT) | instid1(VALU_DEP_4)
	v_sub_f32_e32 v3, v7, v3
	v_fma_f32 v4, v4, 2.0, -v0
	s_delay_alu instid0(VALU_DEP_4) | instskip(SKIP_1) | instid1(VALU_DEP_4)
	v_fma_f32 v5, v1, 2.0, -v2
	v_sub_f32_e32 v1, v6, v2
	v_fma_f32 v7, v7, 2.0, -v3
	s_delay_alu instid0(VALU_DEP_3) | instskip(NEXT) | instid1(VALU_DEP_3)
	v_sub_f32_e32 v2, v8, v5
	v_fma_f32 v5, v6, 2.0, -v1
	s_delay_alu instid0(VALU_DEP_2)
	v_fma_f32 v6, v8, 2.0, -v2
	v_add_nc_u32_e32 v8, 0x400, v110
	ds_store_2addr_b64 v8, v[6:7], v[4:5] offset0:28 offset1:197
	ds_store_2addr_b64 v9, v[2:3], v[0:1] offset0:46 offset1:215
.LBB0_9:
	s_wait_alu 0xfffe
	s_or_b32 exec_lo, exec_lo, s0
	global_wb scope:SCOPE_SE
	s_wait_dscnt 0x0
	s_barrier_signal -1
	s_barrier_wait -1
	global_inv scope:SCOPE_SE
	ds_load_2addr_b64 v[0:3], v110 offset1:52
	v_add_nc_u32_e32 v8, 0x400, v110
	ds_load_2addr_b64 v[4:7], v110 offset0:104 offset1:156
	v_mad_co_u64_u32 v[20:21], null, s6, v72, 0
	v_mad_co_u64_u32 v[22:23], null, s4, v109, 0
	v_add_nc_u32_e32 v17, 0x1000, v110
	v_add_nc_u32_e32 v16, 0x800, v110
	s_mov_b32 s0, 0x7ab2bedd
	s_mov_b32 s1, 0x3f583c97
	s_delay_alu instid0(VALU_DEP_3)
	v_mad_co_u64_u32 v[34:35], null, s7, v72, v[21:22]
	s_wait_dscnt 0x1
	v_mul_f32_e32 v19, v74, v0
	ds_load_b64 v[24:25], v110 offset:4992
	ds_load_2addr_b64 v[8:11], v8 offset0:80 offset1:132
	s_wait_dscnt 0x2
	v_dual_mul_f32 v37, v76, v4 :: v_dual_mul_f32 v18, v74, v1
	v_dual_mul_f32 v30, v80, v3 :: v_dual_mul_f32 v39, v82, v6
	v_dual_mul_f32 v26, v80, v2 :: v_dual_mov_b32 v21, v34
	s_delay_alu instid0(VALU_DEP_3) | instskip(NEXT) | instid1(VALU_DEP_3)
	v_fma_f32 v34, v75, v5, -v37
	v_fmac_f32_e32 v30, v79, v2
	ds_load_2addr_b64 v[12:15], v16 offset0:56 offset1:108
	v_lshlrev_b64_e32 v[20:21], 3, v[20:21]
	s_delay_alu instid0(VALU_DEP_1)
	v_add_co_u32 v20, vcc_lo, s2, v20
	s_wait_dscnt 0x2
	v_mad_co_u64_u32 v[35:36], null, s5, v109, v[23:24]
	s_wait_dscnt 0x1
	v_dual_mul_f32 v37, v78, v9 :: v_dual_fmac_f32 v18, v73, v0
	v_fma_f32 v0, v73, v1, -v19
	v_fma_f32 v1, v79, v3, -v26
	v_cvt_f64_f32_e32 v[30:31], v30
	v_dual_mul_f32 v36, v76, v5 :: v_dual_mov_b32 v23, v35
	v_cvt_f64_f32_e32 v[26:27], v18
	v_cvt_f64_f32_e32 v[28:29], v0
	;; [unrolled: 1-line block ×3, first 2 shown]
	ds_load_2addr_b64 v[0:3], v16 offset0:160 offset1:212
	ds_load_2addr_b64 v[16:19], v17 offset0:8 offset1:60
	v_mul_f32_e32 v38, v82, v7
	v_fma_f32 v35, v81, v7, -v39
	v_mul_f32_e32 v39, v78, v8
	s_wait_dscnt 0x2
	v_dual_fmac_f32 v36, v75, v4 :: v_dual_mul_f32 v43, v86, v13
	v_dual_mul_f32 v48, v98, v25 :: v_dual_mul_f32 v41, v84, v11
	v_dual_mul_f32 v40, v98, v24 :: v_dual_mul_f32 v45, v88, v15
	v_mul_f32_e32 v42, v84, v10
	s_delay_alu instid0(VALU_DEP_3) | instskip(SKIP_1) | instid1(VALU_DEP_4)
	v_fmac_f32_e32 v48, v97, v24
	v_fmac_f32_e32 v37, v77, v8
	v_fma_f32 v56, v97, v25, -v40
	v_fmac_f32_e32 v45, v87, v14
	v_cvt_f64_f32_e32 v[24:25], v36
	v_fma_f32 v8, v77, v9, -v39
	v_dual_fmac_f32 v41, v83, v10 :: v_dual_mul_f32 v44, v86, v12
	s_wait_dscnt 0x1
	v_mul_f32_e32 v51, v92, v2
	s_wait_dscnt 0x0
	v_mul_f32_e32 v55, v96, v18
	v_dual_fmac_f32 v38, v81, v6 :: v_dual_mul_f32 v47, v90, v1
	v_dual_mul_f32 v49, v90, v0 :: v_dual_mul_f32 v50, v92, v3
	v_mul_f32_e32 v52, v94, v17
	v_fma_f32 v10, v83, v11, -v42
	s_delay_alu instid0(VALU_DEP_4) | instskip(NEXT) | instid1(VALU_DEP_4)
	v_fmac_f32_e32 v47, v89, v0
	v_fma_f32 v39, v89, v1, -v49
	v_fmac_f32_e32 v50, v91, v2
	v_cvt_f64_f32_e32 v[0:1], v37
	v_cvt_f64_f32_e32 v[8:9], v8
	v_fma_f32 v40, v91, v3, -v51
	v_cvt_f64_f32_e32 v[2:3], v41
	v_cvt_f64_f32_e32 v[10:11], v10
	s_wait_alu 0xfffe
	v_mul_f64_e32 v[4:5], s[0:1], v[26:27]
	v_mul_f64_e32 v[6:7], s[0:1], v[28:29]
	v_mul_f64_e32 v[26:27], s[0:1], v[30:31]
	v_mul_f64_e32 v[28:29], s[0:1], v[32:33]
	v_cvt_f64_f32_e32 v[30:31], v34
	v_cvt_f64_f32_e32 v[32:33], v38
	;; [unrolled: 1-line block ×3, first 2 shown]
	v_dual_mul_f32 v46, v88, v14 :: v_dual_mul_f32 v53, v94, v16
	v_dual_mul_f32 v54, v96, v19 :: v_dual_fmac_f32 v43, v85, v12
	v_fma_f32 v36, v85, v13, -v44
	s_delay_alu instid0(VALU_DEP_3)
	v_fma_f32 v38, v87, v15, -v46
	v_fmac_f32_e32 v52, v93, v16
	v_fma_f32 v42, v93, v17, -v53
	v_cvt_f64_f32_e32 v[12:13], v43
	v_cvt_f64_f32_e32 v[14:15], v36
	v_fmac_f32_e32 v54, v95, v18
	v_fma_f32 v46, v95, v19, -v55
	v_cvt_f64_f32_e32 v[16:17], v45
	v_cvt_f64_f32_e32 v[18:19], v38
	;; [unrolled: 1-line block ×8, first 2 shown]
	v_mul_f64_e32 v[24:25], s[0:1], v[24:25]
	v_lshlrev_b64_e32 v[22:23], 3, v[22:23]
	s_wait_alu 0xfffd
	v_add_co_ci_u32_e32 v21, vcc_lo, s3, v21, vcc_lo
	s_mul_u64 s[4:5], s[4:5], 0x1a0
	v_mul_f64_e32 v[0:1], s[0:1], v[0:1]
	v_mul_f64_e32 v[8:9], s[0:1], v[8:9]
	v_add_co_u32 v20, vcc_lo, v20, v22
	v_mul_f64_e32 v[2:3], s[0:1], v[2:3]
	v_cvt_f32_f64_e32 v4, v[4:5]
	v_cvt_f32_f64_e32 v5, v[6:7]
	;; [unrolled: 1-line block ×4, first 2 shown]
	v_cvt_f64_f32_e32 v[26:27], v50
	v_cvt_f64_f32_e32 v[28:29], v40
	;; [unrolled: 1-line block ×4, first 2 shown]
	v_mul_f64_e32 v[30:31], s[0:1], v[30:31]
	v_mul_f64_e32 v[32:33], s[0:1], v[32:33]
	;; [unrolled: 1-line block ×4, first 2 shown]
	s_wait_alu 0xfffd
	v_add_co_ci_u32_e32 v21, vcc_lo, v21, v23, vcc_lo
	s_wait_alu 0xfffe
	v_add_co_u32 v22, vcc_lo, v20, s4
	v_mul_f64_e32 v[12:13], s[0:1], v[12:13]
	v_mul_f64_e32 v[14:15], s[0:1], v[14:15]
	s_wait_alu 0xfffd
	v_add_co_ci_u32_e32 v23, vcc_lo, s5, v21, vcc_lo
	v_mul_f64_e32 v[16:17], s[0:1], v[16:17]
	v_mul_f64_e32 v[18:19], s[0:1], v[18:19]
	;; [unrolled: 1-line block ×4, first 2 shown]
	s_clause 0x1
	global_store_b64 v[20:21], v[4:5], off
	global_store_b64 v[22:23], v[6:7], off
	v_cvt_f32_f64_e32 v24, v[24:25]
	v_mul_f64_e32 v[4:5], s[0:1], v[26:27]
	v_mul_f64_e32 v[6:7], s[0:1], v[28:29]
	;; [unrolled: 1-line block ×8, first 2 shown]
	v_cvt_f32_f64_e32 v25, v[30:31]
	v_cvt_f32_f64_e32 v30, v[32:33]
	;; [unrolled: 1-line block ×5, first 2 shown]
	v_add_co_u32 v22, vcc_lo, v22, s4
	s_wait_alu 0xfffd
	v_add_co_ci_u32_e32 v23, vcc_lo, s5, v23, vcc_lo
	v_cvt_f32_f64_e32 v2, v[2:3]
	v_cvt_f32_f64_e32 v3, v[10:11]
	v_add_co_u32 v32, vcc_lo, v22, s4
	s_wait_alu 0xfffd
	v_add_co_ci_u32_e32 v33, vcc_lo, s5, v23, vcc_lo
	v_cvt_f32_f64_e32 v10, v[12:13]
	s_delay_alu instid0(VALU_DEP_3) | instskip(SKIP_1) | instid1(VALU_DEP_3)
	v_add_co_u32 v8, vcc_lo, v32, s4
	s_wait_alu 0xfffd
	v_add_co_ci_u32_e32 v9, vcc_lo, s5, v33, vcc_lo
	v_cvt_f32_f64_e32 v11, v[14:15]
	s_delay_alu instid0(VALU_DEP_3)
	v_add_co_u32 v12, vcc_lo, v8, s4
	v_cvt_f32_f64_e32 v14, v[16:17]
	v_cvt_f32_f64_e32 v15, v[18:19]
	;; [unrolled: 1-line block ×4, first 2 shown]
	s_wait_alu 0xfffd
	v_add_co_ci_u32_e32 v13, vcc_lo, s5, v9, vcc_lo
	v_cvt_f32_f64_e32 v4, v[4:5]
	v_cvt_f32_f64_e32 v5, v[6:7]
	;; [unrolled: 1-line block ×8, first 2 shown]
	v_add_co_u32 v26, vcc_lo, v12, s4
	s_wait_alu 0xfffd
	v_add_co_ci_u32_e32 v27, vcc_lo, s5, v13, vcc_lo
	global_store_b64 v[22:23], v[24:25], off
	v_add_co_u32 v22, vcc_lo, v26, s4
	s_wait_alu 0xfffd
	v_add_co_ci_u32_e32 v23, vcc_lo, s5, v27, vcc_lo
	global_store_b64 v[32:33], v[30:31], off
	;; [unrolled: 4-line block ×7, first 2 shown]
	global_store_b64 v[0:1], v[4:5], off
	global_store_b64 v[2:3], v[6:7], off
	;; [unrolled: 1-line block ×4, first 2 shown]
.LBB0_10:
	s_nop 0
	s_sendmsg sendmsg(MSG_DEALLOC_VGPRS)
	s_endpgm
	.section	.rodata,"a",@progbits
	.p2align	6, 0x0
	.amdhsa_kernel bluestein_single_fwd_len676_dim1_sp_op_CI_CI
		.amdhsa_group_segment_fixed_size 5408
		.amdhsa_private_segment_fixed_size 0
		.amdhsa_kernarg_size 104
		.amdhsa_user_sgpr_count 2
		.amdhsa_user_sgpr_dispatch_ptr 0
		.amdhsa_user_sgpr_queue_ptr 0
		.amdhsa_user_sgpr_kernarg_segment_ptr 1
		.amdhsa_user_sgpr_dispatch_id 0
		.amdhsa_user_sgpr_private_segment_size 0
		.amdhsa_wavefront_size32 1
		.amdhsa_uses_dynamic_stack 0
		.amdhsa_enable_private_segment 0
		.amdhsa_system_sgpr_workgroup_id_x 1
		.amdhsa_system_sgpr_workgroup_id_y 0
		.amdhsa_system_sgpr_workgroup_id_z 0
		.amdhsa_system_sgpr_workgroup_info 0
		.amdhsa_system_vgpr_workitem_id 0
		.amdhsa_next_free_vgpr 234
		.amdhsa_next_free_sgpr 20
		.amdhsa_reserve_vcc 1
		.amdhsa_float_round_mode_32 0
		.amdhsa_float_round_mode_16_64 0
		.amdhsa_float_denorm_mode_32 3
		.amdhsa_float_denorm_mode_16_64 3
		.amdhsa_fp16_overflow 0
		.amdhsa_workgroup_processor_mode 1
		.amdhsa_memory_ordered 1
		.amdhsa_forward_progress 0
		.amdhsa_round_robin_scheduling 0
		.amdhsa_exception_fp_ieee_invalid_op 0
		.amdhsa_exception_fp_denorm_src 0
		.amdhsa_exception_fp_ieee_div_zero 0
		.amdhsa_exception_fp_ieee_overflow 0
		.amdhsa_exception_fp_ieee_underflow 0
		.amdhsa_exception_fp_ieee_inexact 0
		.amdhsa_exception_int_div_zero 0
	.end_amdhsa_kernel
	.text
.Lfunc_end0:
	.size	bluestein_single_fwd_len676_dim1_sp_op_CI_CI, .Lfunc_end0-bluestein_single_fwd_len676_dim1_sp_op_CI_CI
                                        ; -- End function
	.section	.AMDGPU.csdata,"",@progbits
; Kernel info:
; codeLenInByte = 17480
; NumSgprs: 22
; NumVgprs: 234
; ScratchSize: 0
; MemoryBound: 0
; FloatMode: 240
; IeeeMode: 1
; LDSByteSize: 5408 bytes/workgroup (compile time only)
; SGPRBlocks: 2
; VGPRBlocks: 29
; NumSGPRsForWavesPerEU: 22
; NumVGPRsForWavesPerEU: 234
; Occupancy: 6
; WaveLimiterHint : 1
; COMPUTE_PGM_RSRC2:SCRATCH_EN: 0
; COMPUTE_PGM_RSRC2:USER_SGPR: 2
; COMPUTE_PGM_RSRC2:TRAP_HANDLER: 0
; COMPUTE_PGM_RSRC2:TGID_X_EN: 1
; COMPUTE_PGM_RSRC2:TGID_Y_EN: 0
; COMPUTE_PGM_RSRC2:TGID_Z_EN: 0
; COMPUTE_PGM_RSRC2:TIDIG_COMP_CNT: 0
	.text
	.p2alignl 7, 3214868480
	.fill 96, 4, 3214868480
	.type	__hip_cuid_e9e1b29c31014ab2,@object ; @__hip_cuid_e9e1b29c31014ab2
	.section	.bss,"aw",@nobits
	.globl	__hip_cuid_e9e1b29c31014ab2
__hip_cuid_e9e1b29c31014ab2:
	.byte	0                               ; 0x0
	.size	__hip_cuid_e9e1b29c31014ab2, 1

	.ident	"AMD clang version 19.0.0git (https://github.com/RadeonOpenCompute/llvm-project roc-6.4.0 25133 c7fe45cf4b819c5991fe208aaa96edf142730f1d)"
	.section	".note.GNU-stack","",@progbits
	.addrsig
	.addrsig_sym __hip_cuid_e9e1b29c31014ab2
	.amdgpu_metadata
---
amdhsa.kernels:
  - .args:
      - .actual_access:  read_only
        .address_space:  global
        .offset:         0
        .size:           8
        .value_kind:     global_buffer
      - .actual_access:  read_only
        .address_space:  global
        .offset:         8
        .size:           8
        .value_kind:     global_buffer
      - .actual_access:  read_only
        .address_space:  global
        .offset:         16
        .size:           8
        .value_kind:     global_buffer
      - .actual_access:  read_only
        .address_space:  global
        .offset:         24
        .size:           8
        .value_kind:     global_buffer
      - .actual_access:  read_only
        .address_space:  global
        .offset:         32
        .size:           8
        .value_kind:     global_buffer
      - .offset:         40
        .size:           8
        .value_kind:     by_value
      - .address_space:  global
        .offset:         48
        .size:           8
        .value_kind:     global_buffer
      - .address_space:  global
        .offset:         56
        .size:           8
        .value_kind:     global_buffer
      - .address_space:  global
        .offset:         64
        .size:           8
        .value_kind:     global_buffer
      - .address_space:  global
        .offset:         72
        .size:           8
        .value_kind:     global_buffer
      - .offset:         80
        .size:           4
        .value_kind:     by_value
      - .address_space:  global
        .offset:         88
        .size:           8
        .value_kind:     global_buffer
      - .address_space:  global
        .offset:         96
        .size:           8
        .value_kind:     global_buffer
    .group_segment_fixed_size: 5408
    .kernarg_segment_align: 8
    .kernarg_segment_size: 104
    .language:       OpenCL C
    .language_version:
      - 2
      - 0
    .max_flat_workgroup_size: 52
    .name:           bluestein_single_fwd_len676_dim1_sp_op_CI_CI
    .private_segment_fixed_size: 0
    .sgpr_count:     22
    .sgpr_spill_count: 0
    .symbol:         bluestein_single_fwd_len676_dim1_sp_op_CI_CI.kd
    .uniform_work_group_size: 1
    .uses_dynamic_stack: false
    .vgpr_count:     234
    .vgpr_spill_count: 0
    .wavefront_size: 32
    .workgroup_processor_mode: 1
amdhsa.target:   amdgcn-amd-amdhsa--gfx1201
amdhsa.version:
  - 1
  - 2
...

	.end_amdgpu_metadata
